;; amdgpu-corpus repo=ROCm/rocFFT kind=compiled arch=gfx906 opt=O3
	.text
	.amdgcn_target "amdgcn-amd-amdhsa--gfx906"
	.amdhsa_code_object_version 6
	.protected	bluestein_single_back_len546_dim1_dp_op_CI_CI ; -- Begin function bluestein_single_back_len546_dim1_dp_op_CI_CI
	.globl	bluestein_single_back_len546_dim1_dp_op_CI_CI
	.p2align	8
	.type	bluestein_single_back_len546_dim1_dp_op_CI_CI,@function
bluestein_single_back_len546_dim1_dp_op_CI_CI: ; @bluestein_single_back_len546_dim1_dp_op_CI_CI
; %bb.0:
	v_mul_u32_u24_e32 v1, 0x691, v0
	s_mov_b64 s[54:55], s[2:3]
	s_load_dwordx4 s[8:11], s[4:5], 0x28
	v_lshrrev_b32_e32 v1, 16, v1
	s_mov_b64 s[52:53], s[0:1]
	v_mad_u64_u32 v[254:255], s[0:1], s6, 3, v[1:2]
	v_mov_b32_e32 v255, 0
	s_add_u32 s52, s52, s7
	s_waitcnt lgkmcnt(0)
	v_cmp_gt_u64_e32 vcc, s[8:9], v[254:255]
	s_addc_u32 s53, s53, 0
	s_and_saveexec_b64 s[0:1], vcc
	s_cbranch_execz .LBB0_23
; %bb.1:
	s_load_dwordx4 s[12:15], s[4:5], 0x18
	v_mul_lo_u16_e32 v1, 39, v1
	v_sub_u16_e32 v39, v0, v1
	v_lshlrev_b32_e32 v38, 4, v39
	s_waitcnt lgkmcnt(0)
	s_load_dwordx4 s[0:3], s[12:13], 0x0
	s_nop 0
	s_load_dwordx2 s[12:13], s[4:5], 0x0
	s_waitcnt lgkmcnt(0)
	v_mad_u64_u32 v[0:1], s[6:7], s2, v254, 0
	v_mad_u64_u32 v[2:3], s[6:7], s0, v39, 0
	s_mul_i32 s6, s1, 42
	s_mul_hi_u32 s7, s0, 42
	v_mad_u64_u32 v[4:5], s[2:3], s3, v254, v[1:2]
	s_add_i32 s7, s7, s6
	s_mul_i32 s6, s0, 42
	v_mad_u64_u32 v[5:6], s[2:3], s1, v39, v[3:4]
	v_mov_b32_e32 v1, v4
	v_lshlrev_b64 v[0:1], 4, v[0:1]
	v_mov_b32_e32 v3, v5
	v_mov_b32_e32 v6, s11
	v_lshlrev_b64 v[2:3], 4, v[2:3]
	v_add_co_u32_e32 v0, vcc, s10, v0
	v_addc_co_u32_e32 v1, vcc, v6, v1, vcc
	v_add_co_u32_e32 v0, vcc, v0, v2
	v_mov_b32_e32 v2, s13
	v_add_co_u32_e64 v252, s[2:3], s12, v38
	v_addc_co_u32_e32 v1, vcc, v1, v3, vcc
	v_addc_co_u32_e64 v253, vcc, 0, v2, s[2:3]
	s_lshl_b64 s[16:17], s[6:7], 4
	v_mov_b32_e32 v36, s17
	v_add_co_u32_e32 v2, vcc, s16, v0
	v_addc_co_u32_e32 v3, vcc, v1, v36, vcc
	global_load_dwordx4 v[4:7], v[0:1], off
	global_load_dwordx4 v[8:11], v[2:3], off
	global_load_dwordx4 v[47:50], v38, s[12:13]
	global_load_dwordx4 v[115:118], v38, s[12:13] offset:672
	v_add_co_u32_e32 v0, vcc, s16, v2
	v_addc_co_u32_e32 v1, vcc, v3, v36, vcc
	v_add_co_u32_e32 v2, vcc, s16, v0
	v_addc_co_u32_e32 v3, vcc, v1, v36, vcc
	global_load_dwordx4 v[12:15], v[0:1], off
	global_load_dwordx4 v[16:19], v[2:3], off
	global_load_dwordx4 v[119:122], v38, s[12:13] offset:1344
	global_load_dwordx4 v[99:102], v38, s[12:13] offset:2016
	v_add_co_u32_e32 v0, vcc, s16, v2
	v_addc_co_u32_e32 v1, vcc, v3, v36, vcc
	global_load_dwordx4 v[20:23], v[0:1], off
	v_add_co_u32_e32 v0, vcc, s16, v0
	v_addc_co_u32_e32 v1, vcc, v1, v36, vcc
	global_load_dwordx4 v[24:27], v[0:1], off
	global_load_dwordx4 v[111:114], v38, s[12:13] offset:2688
	global_load_dwordx4 v[87:90], v38, s[12:13] offset:3360
	v_add_co_u32_e32 v0, vcc, s16, v0
	v_addc_co_u32_e32 v1, vcc, v1, v36, vcc
	v_add_co_u32_e32 v2, vcc, s16, v0
	v_addc_co_u32_e32 v3, vcc, v1, v36, vcc
	s_movk_i32 s6, 0x1000
	global_load_dwordx4 v[28:31], v[0:1], off
	global_load_dwordx4 v[79:82], v38, s[12:13] offset:4032
	v_add_co_u32_e32 v0, vcc, s6, v252
	v_addc_co_u32_e32 v1, vcc, 0, v253, vcc
	global_load_dwordx4 v[32:35], v[2:3], off
	v_add_co_u32_e32 v2, vcc, s16, v2
	v_addc_co_u32_e32 v3, vcc, v3, v36, vcc
	global_load_dwordx4 v[40:43], v[2:3], off
	global_load_dwordx4 v[107:110], v[0:1], off offset:608
	global_load_dwordx4 v[83:86], v[0:1], off offset:1280
	v_add_co_u32_e32 v2, vcc, s16, v2
	v_addc_co_u32_e32 v3, vcc, v3, v36, vcc
	global_load_dwordx4 v[52:55], v[2:3], off
	v_add_co_u32_e32 v2, vcc, s16, v2
	v_addc_co_u32_e32 v3, vcc, v3, v36, vcc
	global_load_dwordx4 v[56:59], v[2:3], off
	global_load_dwordx4 v[103:106], v[0:1], off offset:1952
	global_load_dwordx4 v[75:78], v[0:1], off offset:2624
	v_add_co_u32_e32 v2, vcc, s16, v2
	v_addc_co_u32_e32 v3, vcc, v3, v36, vcc
	global_load_dwordx4 v[60:63], v[2:3], off
	v_add_co_u32_e32 v2, vcc, s16, v2
	v_addc_co_u32_e32 v3, vcc, v3, v36, vcc
	s_mov_b32 s6, 0xaaaaaaab
	global_load_dwordx4 v[91:94], v[0:1], off offset:3296
	global_load_dwordx4 v[64:67], v[2:3], off
	global_load_dwordx4 v[95:98], v[0:1], off offset:3968
	v_mul_hi_u32 v46, v254, s6
	s_load_dwordx2 s[6:7], s[4:5], 0x38
	s_load_dwordx4 s[8:11], s[14:15], 0x0
	v_cmp_gt_u16_e32 vcc, 3, v39
	v_lshrrev_b32_e32 v46, 1, v46
	v_lshl_add_u32 v46, v46, 1, v46
	v_sub_u32_e32 v74, v254, v46
	s_waitcnt vmcnt(23)
	v_mul_f64 v[36:37], v[6:7], v[49:50]
	v_mul_f64 v[44:45], v[4:5], v[49:50]
	v_fma_f64 v[4:5], v[4:5], v[47:48], v[36:37]
	buffer_store_dword v47, off, s[52:55], 0 offset:192 ; 4-byte Folded Spill
	s_nop 0
	buffer_store_dword v48, off, s[52:55], 0 offset:196 ; 4-byte Folded Spill
	buffer_store_dword v49, off, s[52:55], 0 offset:200 ; 4-byte Folded Spill
	buffer_store_dword v50, off, s[52:55], 0 offset:204 ; 4-byte Folded Spill
	s_waitcnt vmcnt(26)
	v_mul_f64 v[36:37], v[10:11], v[117:118]
	s_waitcnt vmcnt(22)
	v_mul_f64 v[50:51], v[18:19], v[101:102]
	v_mul_f64 v[68:69], v[16:17], v[101:102]
	s_waitcnt vmcnt(19)
	v_mul_f64 v[70:71], v[22:23], v[113:114]
	v_fma_f64 v[16:17], v[16:17], v[99:100], v[50:51]
	v_mul_f64 v[72:73], v[20:21], v[113:114]
	v_fma_f64 v[20:21], v[20:21], v[111:112], v[70:71]
	v_fma_f64 v[6:7], v[6:7], v[47:48], -v[44:45]
	v_mul_f64 v[46:47], v[14:15], v[121:122]
	v_mul_f64 v[44:45], v[8:9], v[117:118]
	v_fma_f64 v[8:9], v[8:9], v[115:116], v[36:37]
	buffer_store_dword v115, off, s[52:55], 0 offset:160 ; 4-byte Folded Spill
	s_nop 0
	buffer_store_dword v116, off, s[52:55], 0 offset:164 ; 4-byte Folded Spill
	buffer_store_dword v117, off, s[52:55], 0 offset:168 ; 4-byte Folded Spill
	;; [unrolled: 1-line block ×3, first 2 shown]
	v_mul_f64 v[48:49], v[12:13], v[121:122]
	v_mul_u32_u24_e32 v36, 0x222, v74
	v_lshlrev_b32_e32 v220, 4, v36
	v_add_u32_e32 v38, v38, v220
	v_fma_f64 v[12:13], v[12:13], v[119:120], v[46:47]
	buffer_store_dword v119, off, s[52:55], 0 offset:176 ; 4-byte Folded Spill
	s_nop 0
	buffer_store_dword v120, off, s[52:55], 0 offset:180 ; 4-byte Folded Spill
	buffer_store_dword v121, off, s[52:55], 0 offset:184 ; 4-byte Folded Spill
	buffer_store_dword v122, off, s[52:55], 0 offset:188 ; 4-byte Folded Spill
	buffer_store_dword v99, off, s[52:55], 0 offset:96 ; 4-byte Folded Spill
	s_nop 0
	buffer_store_dword v100, off, s[52:55], 0 offset:100 ; 4-byte Folded Spill
	buffer_store_dword v101, off, s[52:55], 0 offset:104 ; 4-byte Folded Spill
	buffer_store_dword v102, off, s[52:55], 0 offset:108 ; 4-byte Folded Spill
	;; [unrolled: 5-line block ×3, first 2 shown]
	v_fma_f64 v[10:11], v[10:11], v[115:116], -v[44:45]
	v_fma_f64 v[14:15], v[14:15], v[119:120], -v[48:49]
	;; [unrolled: 1-line block ×4, first 2 shown]
	ds_write_b128 v38, v[4:7]
	ds_write_b128 v38, v[8:11] offset:672
	ds_write_b128 v38, v[12:15] offset:1344
	;; [unrolled: 1-line block ×4, first 2 shown]
	s_waitcnt vmcnt(34)
	v_mul_f64 v[4:5], v[26:27], v[89:90]
	s_waitcnt vmcnt(32)
	v_mul_f64 v[8:9], v[30:31], v[81:82]
	;; [unrolled: 2-line block ×3, first 2 shown]
	v_mul_f64 v[6:7], v[24:25], v[89:90]
	v_mul_f64 v[10:11], v[28:29], v[81:82]
	;; [unrolled: 1-line block ×3, first 2 shown]
	s_waitcnt vmcnt(28)
	v_mul_f64 v[16:17], v[42:43], v[85:86]
	s_waitcnt vmcnt(25)
	v_mul_f64 v[20:21], v[54:55], v[105:106]
	v_fma_f64 v[4:5], v[24:25], v[87:88], v[4:5]
	buffer_store_dword v87, off, s[52:55], 0 offset:48 ; 4-byte Folded Spill
	s_nop 0
	buffer_store_dword v88, off, s[52:55], 0 offset:52 ; 4-byte Folded Spill
	buffer_store_dword v89, off, s[52:55], 0 offset:56 ; 4-byte Folded Spill
	buffer_store_dword v90, off, s[52:55], 0 offset:60 ; 4-byte Folded Spill
	v_fma_f64 v[8:9], v[28:29], v[79:80], v[8:9]
	buffer_store_dword v79, off, s[52:55], 0 offset:16 ; 4-byte Folded Spill
	s_nop 0
	buffer_store_dword v80, off, s[52:55], 0 offset:20 ; 4-byte Folded Spill
	buffer_store_dword v81, off, s[52:55], 0 offset:24 ; 4-byte Folded Spill
	buffer_store_dword v82, off, s[52:55], 0 offset:28 ; 4-byte Folded Spill
	;; [unrolled: 6-line block ×3, first 2 shown]
	s_waitcnt vmcnt(36)
	v_mul_f64 v[24:25], v[58:59], v[77:78]
	s_waitcnt vmcnt(34)
	v_mul_f64 v[28:29], v[62:63], v[93:94]
	;; [unrolled: 2-line block ×3, first 2 shown]
	v_mul_f64 v[18:19], v[40:41], v[85:86]
	v_fma_f64 v[16:17], v[40:41], v[83:84], v[16:17]
	buffer_store_dword v83, off, s[52:55], 0 offset:32 ; 4-byte Folded Spill
	s_nop 0
	buffer_store_dword v84, off, s[52:55], 0 offset:36 ; 4-byte Folded Spill
	buffer_store_dword v85, off, s[52:55], 0 offset:40 ; 4-byte Folded Spill
	buffer_store_dword v86, off, s[52:55], 0 offset:44 ; 4-byte Folded Spill
	v_mul_f64 v[22:23], v[52:53], v[105:106]
	v_fma_f64 v[20:21], v[52:53], v[103:104], v[20:21]
	buffer_store_dword v103, off, s[52:55], 0 offset:112 ; 4-byte Folded Spill
	s_nop 0
	buffer_store_dword v104, off, s[52:55], 0 offset:116 ; 4-byte Folded Spill
	buffer_store_dword v105, off, s[52:55], 0 offset:120 ; 4-byte Folded Spill
	;; [unrolled: 1-line block ×3, first 2 shown]
	v_fma_f64 v[24:25], v[56:57], v[75:76], v[24:25]
	v_fma_f64 v[28:29], v[60:61], v[91:92], v[28:29]
	;; [unrolled: 1-line block ×3, first 2 shown]
	v_fma_f64 v[6:7], v[26:27], v[87:88], -v[6:7]
	v_mul_f64 v[26:27], v[56:57], v[77:78]
	buffer_store_dword v75, off, s[52:55], 0 ; 4-byte Folded Spill
	s_nop 0
	buffer_store_dword v76, off, s[52:55], 0 offset:4 ; 4-byte Folded Spill
	buffer_store_dword v77, off, s[52:55], 0 offset:8 ; 4-byte Folded Spill
	;; [unrolled: 1-line block ×3, first 2 shown]
	v_fma_f64 v[10:11], v[30:31], v[79:80], -v[10:11]
	v_mul_f64 v[30:31], v[60:61], v[93:94]
	buffer_store_dword v91, off, s[52:55], 0 offset:64 ; 4-byte Folded Spill
	s_nop 0
	buffer_store_dword v92, off, s[52:55], 0 offset:68 ; 4-byte Folded Spill
	buffer_store_dword v93, off, s[52:55], 0 offset:72 ; 4-byte Folded Spill
	;; [unrolled: 1-line block ×3, first 2 shown]
	v_fma_f64 v[14:15], v[34:35], v[107:108], -v[14:15]
	v_mul_f64 v[34:35], v[64:65], v[97:98]
	buffer_store_dword v95, off, s[52:55], 0 offset:80 ; 4-byte Folded Spill
	s_nop 0
	buffer_store_dword v96, off, s[52:55], 0 offset:84 ; 4-byte Folded Spill
	buffer_store_dword v97, off, s[52:55], 0 offset:88 ; 4-byte Folded Spill
	;; [unrolled: 1-line block ×3, first 2 shown]
	v_fma_f64 v[18:19], v[42:43], v[83:84], -v[18:19]
	v_fma_f64 v[22:23], v[54:55], v[103:104], -v[22:23]
	;; [unrolled: 1-line block ×5, first 2 shown]
	ds_write_b128 v38, v[4:7] offset:3360
	ds_write_b128 v38, v[8:11] offset:4032
	;; [unrolled: 1-line block ×8, first 2 shown]
	s_and_saveexec_b64 s[14:15], vcc
	s_cbranch_execz .LBB0_3
; %bb.2:
	v_mov_b32_e32 v4, 0xffffe2f0
	v_mad_u64_u32 v[6:7], s[18:19], s0, v4, v[2:3]
	s_mulk_i32 s1, 0xe2f0
	s_sub_i32 s0, s1, s0
	v_add_u32_e32 v7, s0, v7
	v_mov_b32_e32 v46, s17
	v_add_co_u32_e64 v18, s[0:1], s16, v6
	v_addc_co_u32_e64 v19, s[0:1], v7, v46, s[0:1]
	v_add_co_u32_e64 v22, s[0:1], s16, v18
	v_addc_co_u32_e64 v23, s[0:1], v19, v46, s[0:1]
	v_add_co_u32_e64 v34, s[0:1], s16, v22
	global_load_dwordx4 v[2:5], v[6:7], off
	v_addc_co_u32_e64 v35, s[0:1], v23, v46, s[0:1]
	global_load_dwordx4 v[6:9], v[18:19], off
	global_load_dwordx4 v[10:13], v[252:253], off offset:624
	global_load_dwordx4 v[14:17], v[252:253], off offset:1296
	v_add_co_u32_e64 v40, s[0:1], s16, v34
	global_load_dwordx4 v[18:21], v[22:23], off
	v_addc_co_u32_e64 v41, s[0:1], v35, v46, s[0:1]
	global_load_dwordx4 v[22:25], v[34:35], off
	global_load_dwordx4 v[26:29], v[252:253], off offset:1968
	global_load_dwordx4 v[30:33], v[252:253], off offset:2640
	;; [unrolled: 6-line block ×3, first 2 shown]
	v_add_co_u32_e64 v44, s[0:1], s16, v44
	v_addc_co_u32_e64 v45, s[0:1], v45, v46, s[0:1]
	global_load_dwordx4 v[60:63], v[44:45], off
	v_add_co_u32_e64 v44, s[0:1], s16, v44
	v_addc_co_u32_e64 v45, s[0:1], v45, v46, s[0:1]
	global_load_dwordx4 v[64:67], v[44:45], off
	global_load_dwordx4 v[68:71], v[0:1], off offset:560
	global_load_dwordx4 v[72:75], v[0:1], off offset:1232
	v_add_co_u32_e64 v44, s[0:1], s16, v44
	v_addc_co_u32_e64 v45, s[0:1], v45, v46, s[0:1]
	global_load_dwordx4 v[76:79], v[44:45], off
	v_add_co_u32_e64 v44, s[0:1], s16, v44
	v_addc_co_u32_e64 v45, s[0:1], v45, v46, s[0:1]
	global_load_dwordx4 v[80:83], v[44:45], off
	global_load_dwordx4 v[84:87], v[0:1], off offset:1904
	global_load_dwordx4 v[88:91], v[0:1], off offset:2576
	;; [unrolled: 8-line block ×3, first 2 shown]
	v_add_co_u32_e64 v0, s[0:1], s16, v44
	v_addc_co_u32_e64 v1, s[0:1], v45, v46, s[0:1]
	s_movk_i32 s0, 0x2000
	v_add_co_u32_e64 v44, s[0:1], s0, v252
	v_addc_co_u32_e64 v45, s[0:1], 0, v253, s[0:1]
	global_load_dwordx4 v[108:111], v[44:45], off offset:496
	global_load_dwordx4 v[112:115], v[0:1], off
	s_waitcnt vmcnt(23)
	v_mul_f64 v[0:1], v[4:5], v[12:13]
	v_mul_f64 v[12:13], v[2:3], v[12:13]
	s_waitcnt vmcnt(22)
	v_mul_f64 v[44:45], v[8:9], v[16:17]
	v_mul_f64 v[16:17], v[6:7], v[16:17]
	s_waitcnt vmcnt(19)
	v_mul_f64 v[46:47], v[20:21], v[28:29]
	v_mul_f64 v[28:29], v[18:19], v[28:29]
	s_waitcnt vmcnt(18)
	v_mul_f64 v[48:49], v[24:25], v[32:33]
	v_mul_f64 v[32:33], v[22:23], v[32:33]
	v_fma_f64 v[0:1], v[2:3], v[10:11], v[0:1]
	v_fma_f64 v[2:3], v[4:5], v[10:11], -v[12:13]
	s_waitcnt vmcnt(15)
	v_mul_f64 v[50:51], v[36:37], v[54:55]
	v_mul_f64 v[54:55], v[34:35], v[54:55]
	v_fma_f64 v[4:5], v[6:7], v[14:15], v[44:45]
	v_fma_f64 v[6:7], v[8:9], v[14:15], -v[16:17]
	v_fma_f64 v[8:9], v[18:19], v[26:27], v[46:47]
	v_fma_f64 v[10:11], v[20:21], v[26:27], -v[28:29]
	;; [unrolled: 2-line block ×4, first 2 shown]
	ds_write_b128 v38, v[0:3] offset:624
	ds_write_b128 v38, v[4:7] offset:1296
	;; [unrolled: 1-line block ×5, first 2 shown]
	s_waitcnt vmcnt(14)
	v_mul_f64 v[0:1], v[42:43], v[58:59]
	v_mul_f64 v[2:3], v[40:41], v[58:59]
	s_waitcnt vmcnt(11)
	v_mul_f64 v[4:5], v[62:63], v[70:71]
	v_mul_f64 v[6:7], v[60:61], v[70:71]
	;; [unrolled: 3-line block ×5, first 2 shown]
	v_fma_f64 v[0:1], v[40:41], v[56:57], v[0:1]
	v_fma_f64 v[2:3], v[42:43], v[56:57], -v[2:3]
	v_fma_f64 v[4:5], v[60:61], v[68:69], v[4:5]
	v_fma_f64 v[6:7], v[62:63], v[68:69], -v[6:7]
	;; [unrolled: 2-line block ×3, first 2 shown]
	s_waitcnt vmcnt(3)
	v_mul_f64 v[20:21], v[94:95], v[102:103]
	v_mul_f64 v[22:23], v[92:93], v[102:103]
	s_waitcnt vmcnt(2)
	v_mul_f64 v[24:25], v[98:99], v[106:107]
	v_mul_f64 v[26:27], v[96:97], v[106:107]
	v_fma_f64 v[12:13], v[76:77], v[84:85], v[12:13]
	v_fma_f64 v[14:15], v[78:79], v[84:85], -v[14:15]
	v_fma_f64 v[16:17], v[80:81], v[88:89], v[16:17]
	v_fma_f64 v[18:19], v[82:83], v[88:89], -v[18:19]
	;; [unrolled: 2-line block ×3, first 2 shown]
	v_fma_f64 v[24:25], v[96:97], v[104:105], v[24:25]
	s_waitcnt vmcnt(0)
	v_mul_f64 v[28:29], v[114:115], v[110:111]
	v_mul_f64 v[30:31], v[112:113], v[110:111]
	v_fma_f64 v[26:27], v[98:99], v[104:105], -v[26:27]
	v_fma_f64 v[28:29], v[112:113], v[108:109], v[28:29]
	v_fma_f64 v[30:31], v[114:115], v[108:109], -v[30:31]
	ds_write_b128 v38, v[0:3] offset:3984
	ds_write_b128 v38, v[4:7] offset:4656
	ds_write_b128 v38, v[8:11] offset:5328
	ds_write_b128 v38, v[12:15] offset:6000
	ds_write_b128 v38, v[16:19] offset:6672
	ds_write_b128 v38, v[20:23] offset:7344
	ds_write_b128 v38, v[24:27] offset:8016
	ds_write_b128 v38, v[28:31] offset:8688
.LBB0_3:
	s_or_b64 exec, exec, s[14:15]
	s_waitcnt vmcnt(0) lgkmcnt(0)
	s_barrier
	ds_read_b128 v[140:143], v38
	ds_read_b128 v[152:155], v38 offset:672
	ds_read_b128 v[144:147], v38 offset:1344
	;; [unrolled: 1-line block ×12, first 2 shown]
                                        ; implicit-def: $vgpr88_vgpr89
                                        ; implicit-def: $vgpr100_vgpr101
                                        ; implicit-def: $vgpr96_vgpr97
                                        ; implicit-def: $vgpr76_vgpr77
                                        ; implicit-def: $vgpr68_vgpr69
                                        ; implicit-def: $vgpr60_vgpr61
                                        ; implicit-def: $vgpr52_vgpr53
                                        ; implicit-def: $vgpr56_vgpr57
                                        ; implicit-def: $vgpr64_vgpr65
                                        ; implicit-def: $vgpr72_vgpr73
                                        ; implicit-def: $vgpr92_vgpr93
                                        ; implicit-def: $vgpr104_vgpr105
                                        ; implicit-def: $vgpr108_vgpr109
	s_and_saveexec_b64 s[0:1], vcc
	s_cbranch_execz .LBB0_5
; %bb.4:
	ds_read_b128 v[88:91], v38 offset:624
	ds_read_b128 v[100:103], v38 offset:1296
	;; [unrolled: 1-line block ×13, first 2 shown]
.LBB0_5:
	s_or_b64 exec, exec, s[0:1]
	s_waitcnt lgkmcnt(11)
	v_add_f64 v[1:2], v[140:141], v[152:153]
	v_add_f64 v[3:4], v[142:143], v[154:155]
	s_waitcnt lgkmcnt(0)
	v_add_f64 v[9:10], v[152:153], -v[84:85]
	v_add_f64 v[11:12], v[154:155], -v[86:87]
	s_mov_b32 s36, 0x66966769
	s_mov_b32 s20, 0x2ef20147
	;; [unrolled: 1-line block ×4, first 2 shown]
	v_add_f64 v[1:2], v[1:2], v[144:145]
	v_add_f64 v[3:4], v[3:4], v[146:147]
	s_mov_b32 s21, 0xbfedeba7
	s_mov_b32 s25, 0xbfe5384d
	v_add_f64 v[5:6], v[152:153], v[84:85]
	v_add_f64 v[7:8], v[154:155], v[86:87]
	v_mul_f64 v[21:22], v[11:12], s[36:37]
	v_mul_f64 v[23:24], v[9:10], s[36:37]
	v_add_f64 v[1:2], v[1:2], v[132:133]
	v_add_f64 v[3:4], v[3:4], v[134:135]
	v_mul_f64 v[25:26], v[11:12], s[20:21]
	v_mul_f64 v[27:28], v[9:10], s[20:21]
	;; [unrolled: 1-line block ×4, first 2 shown]
	v_add_co_u32_e64 v0, s[0:1], 39, v39
	v_add_f64 v[1:2], v[1:2], v[124:125]
	v_add_f64 v[3:4], v[3:4], v[126:127]
	s_mov_b32 s0, 0xebaa3ed8
	s_mov_b32 s18, 0xb2365da1
	;; [unrolled: 1-line block ×6, first 2 shown]
	v_add_f64 v[1:2], v[1:2], v[116:117]
	v_add_f64 v[3:4], v[3:4], v[118:119]
	v_fma_f64 v[44:45], v[5:6], s[0:1], -v[21:22]
	v_fma_f64 v[46:47], v[7:8], s[0:1], v[23:24]
	v_fma_f64 v[21:22], v[5:6], s[0:1], v[21:22]
	v_fma_f64 v[23:24], v[7:8], s[0:1], -v[23:24]
	v_fma_f64 v[48:49], v[5:6], s[18:19], -v[25:26]
	v_fma_f64 v[50:51], v[7:8], s[18:19], v[27:28]
	v_add_f64 v[1:2], v[1:2], v[80:81]
	v_add_f64 v[3:4], v[3:4], v[82:83]
	v_fma_f64 v[152:153], v[5:6], s[22:23], -v[29:30]
	v_fma_f64 v[154:155], v[7:8], s[22:23], v[31:32]
	s_mov_b32 s46, 0x4267c47c
	s_mov_b32 s47, 0xbfddbe06
	v_mul_f64 v[13:14], v[11:12], s[46:47]
	v_mul_f64 v[15:16], v[9:10], s[46:47]
	v_add_f64 v[1:2], v[1:2], v[112:113]
	v_add_f64 v[3:4], v[3:4], v[114:115]
	s_mov_b32 s16, 0xe00740e9
	s_mov_b32 s26, 0x42a4c3d2
	;; [unrolled: 1-line block ×6, first 2 shown]
	v_add_f64 v[1:2], v[1:2], v[120:121]
	v_add_f64 v[3:4], v[3:4], v[122:123]
	v_mul_f64 v[17:18], v[11:12], s[26:27]
	v_mul_f64 v[19:20], v[9:10], s[26:27]
	v_fma_f64 v[33:34], v[5:6], s[16:17], -v[13:14]
	v_fma_f64 v[35:36], v[7:8], s[16:17], v[15:16]
	v_fma_f64 v[29:30], v[5:6], s[22:23], v[29:30]
	v_fma_f64 v[31:32], v[7:8], s[22:23], -v[31:32]
	v_add_f64 v[1:2], v[1:2], v[128:129]
	v_add_f64 v[3:4], v[3:4], v[130:131]
	v_mul_f64 v[11:12], v[11:12], s[28:29]
	v_mul_f64 v[9:10], v[9:10], s[28:29]
	s_mov_b32 s14, 0x1ea71119
	s_mov_b32 s30, 0x93053d00
	;; [unrolled: 1-line block ×4, first 2 shown]
	v_add_f64 v[1:2], v[1:2], v[136:137]
	v_add_f64 v[3:4], v[3:4], v[138:139]
	v_fma_f64 v[13:14], v[5:6], s[16:17], v[13:14]
	v_fma_f64 v[15:16], v[7:8], s[16:17], -v[15:16]
	v_fma_f64 v[40:41], v[5:6], s[14:15], -v[17:18]
	v_fma_f64 v[42:43], v[7:8], s[14:15], v[19:20]
	v_fma_f64 v[17:18], v[5:6], s[14:15], v[17:18]
	v_fma_f64 v[19:20], v[7:8], s[14:15], -v[19:20]
	v_add_f64 v[1:2], v[1:2], v[148:149]
	v_add_f64 v[3:4], v[3:4], v[150:151]
	v_fma_f64 v[25:26], v[5:6], s[18:19], v[25:26]
	v_fma_f64 v[27:28], v[7:8], s[18:19], -v[27:28]
	v_add_f64 v[33:34], v[140:141], v[33:34]
	v_add_f64 v[35:36], v[142:143], v[35:36]
	v_fma_f64 v[156:157], v[5:6], s[30:31], -v[11:12]
	v_fma_f64 v[158:159], v[7:8], s[30:31], v[9:10]
	v_add_f64 v[84:85], v[1:2], v[84:85]
	v_add_f64 v[86:87], v[3:4], v[86:87]
	;; [unrolled: 1-line block ×8, first 2 shown]
	v_add_f64 v[152:153], v[146:147], -v[150:151]
	v_add_f64 v[154:155], v[144:145], -v[148:149]
	v_add_f64 v[144:145], v[144:145], v[148:149]
	v_add_f64 v[146:147], v[146:147], v[150:151]
	v_fma_f64 v[5:6], v[5:6], s[30:31], v[11:12]
	v_fma_f64 v[7:8], v[7:8], s[30:31], -v[9:10]
	v_add_f64 v[9:10], v[140:141], v[29:30]
	v_add_f64 v[11:12], v[142:143], v[31:32]
	v_mul_f64 v[148:149], v[152:153], s[26:27]
	v_mul_f64 v[150:151], v[154:155], s[26:27]
	v_add_f64 v[13:14], v[140:141], v[13:14]
	v_add_f64 v[15:16], v[142:143], v[15:16]
	v_add_f64 v[40:41], v[140:141], v[40:41]
	v_add_f64 v[42:43], v[142:143], v[42:43]
	v_add_f64 v[17:18], v[140:141], v[17:18]
	v_add_f64 v[19:20], v[142:143], v[19:20]
	v_fma_f64 v[29:30], v[144:145], s[14:15], -v[148:149]
	v_fma_f64 v[31:32], v[146:147], s[14:15], v[150:151]
	v_add_f64 v[44:45], v[140:141], v[44:45]
	v_add_f64 v[46:47], v[142:143], v[46:47]
	;; [unrolled: 1-line block ×8, first 2 shown]
	v_mul_f64 v[140:141], v[152:153], s[20:21]
	v_mul_f64 v[142:143], v[154:155], s[20:21]
	v_add_f64 v[29:30], v[29:30], v[33:34]
	v_add_f64 v[31:32], v[31:32], v[35:36]
	v_mul_f64 v[33:34], v[152:153], s[28:29]
	v_mul_f64 v[35:36], v[154:155], s[28:29]
	v_fma_f64 v[148:149], v[144:145], s[14:15], v[148:149]
	v_fma_f64 v[150:151], v[146:147], s[14:15], -v[150:151]
	s_mov_b32 s35, 0x3fefc445
	s_mov_b32 s34, s36
	v_fma_f64 v[160:161], v[144:145], s[18:19], -v[140:141]
	v_fma_f64 v[162:163], v[146:147], s[18:19], v[142:143]
	v_fma_f64 v[140:141], v[144:145], s[18:19], v[140:141]
	v_fma_f64 v[142:143], v[146:147], s[18:19], -v[142:143]
	v_fma_f64 v[164:165], v[144:145], s[30:31], -v[33:34]
	v_fma_f64 v[166:167], v[146:147], s[30:31], v[35:36]
	v_add_f64 v[13:14], v[148:149], v[13:14]
	v_add_f64 v[15:16], v[150:151], v[15:16]
	v_mul_f64 v[148:149], v[152:153], s[34:35]
	v_mul_f64 v[150:151], v[154:155], s[34:35]
	s_mov_b32 s41, 0x3fe5384d
	s_mov_b32 s40, s24
	v_add_f64 v[17:18], v[140:141], v[17:18]
	v_add_f64 v[19:20], v[142:143], v[19:20]
	;; [unrolled: 1-line block ×4, first 2 shown]
	v_mul_f64 v[140:141], v[152:153], s[40:41]
	v_mul_f64 v[142:143], v[154:155], s[40:41]
	v_fma_f64 v[33:34], v[144:145], s[30:31], v[33:34]
	v_fma_f64 v[35:36], v[146:147], s[30:31], -v[35:36]
	v_fma_f64 v[164:165], v[144:145], s[0:1], -v[148:149]
	v_fma_f64 v[166:167], v[146:147], s[0:1], v[150:151]
	v_add_f64 v[40:41], v[160:161], v[40:41]
	v_add_f64 v[42:43], v[162:163], v[42:43]
	v_fma_f64 v[160:161], v[144:145], s[22:23], -v[140:141]
	v_fma_f64 v[162:163], v[146:147], s[22:23], v[142:143]
	v_fma_f64 v[140:141], v[144:145], s[22:23], v[140:141]
	v_fma_f64 v[142:143], v[146:147], s[22:23], -v[142:143]
	v_add_f64 v[1:2], v[33:34], v[1:2]
	v_add_f64 v[3:4], v[35:36], v[3:4]
	;; [unrolled: 1-line block ×4, first 2 shown]
	v_add_f64 v[48:49], v[134:135], -v[138:139]
	v_add_f64 v[50:51], v[132:133], -v[136:137]
	s_mov_b32 s39, 0x3fddbe06
	s_mov_b32 s38, s46
	v_add_f64 v[25:26], v[140:141], v[25:26]
	v_add_f64 v[27:28], v[142:143], v[27:28]
	v_mul_f64 v[140:141], v[152:153], s[38:39]
	v_mul_f64 v[142:143], v[154:155], s[38:39]
	v_add_f64 v[132:133], v[132:133], v[136:137]
	v_add_f64 v[134:135], v[134:135], v[138:139]
	v_mul_f64 v[136:137], v[48:49], s[36:37]
	v_mul_f64 v[138:139], v[50:51], s[36:37]
	v_fma_f64 v[148:149], v[144:145], s[0:1], v[148:149]
	v_fma_f64 v[150:151], v[146:147], s[0:1], -v[150:151]
	v_fma_f64 v[152:153], v[144:145], s[16:17], -v[140:141]
	v_fma_f64 v[154:155], v[146:147], s[16:17], v[142:143]
	v_fma_f64 v[140:141], v[144:145], s[16:17], v[140:141]
	v_fma_f64 v[142:143], v[146:147], s[16:17], -v[142:143]
	v_fma_f64 v[144:145], v[132:133], s[0:1], -v[136:137]
	v_fma_f64 v[146:147], v[134:135], s[0:1], v[138:139]
	s_mov_b32 s49, 0x3fedeba7
	s_mov_b32 s48, s20
	v_fma_f64 v[136:137], v[132:133], s[0:1], v[136:137]
	v_fma_f64 v[138:139], v[134:135], s[0:1], -v[138:139]
	v_add_f64 v[5:6], v[140:141], v[5:6]
	v_add_f64 v[7:8], v[142:143], v[7:8]
	;; [unrolled: 1-line block ×4, first 2 shown]
	v_mul_f64 v[144:145], v[48:49], s[48:49]
	v_mul_f64 v[146:147], v[50:51], s[48:49]
	;; [unrolled: 1-line block ×4, first 2 shown]
	v_add_f64 v[13:14], v[136:137], v[13:14]
	v_add_f64 v[15:16], v[138:139], v[15:16]
	;; [unrolled: 1-line block ×4, first 2 shown]
	v_fma_f64 v[136:137], v[132:133], s[18:19], -v[144:145]
	v_fma_f64 v[138:139], v[134:135], s[18:19], v[146:147]
	v_add_f64 v[148:149], v[152:153], v[156:157]
	v_add_f64 v[150:151], v[154:155], v[158:159]
	v_fma_f64 v[152:153], v[132:133], s[30:31], -v[140:141]
	v_fma_f64 v[154:155], v[134:135], s[30:31], v[142:143]
	v_fma_f64 v[140:141], v[132:133], s[30:31], v[140:141]
	v_fma_f64 v[142:143], v[134:135], s[30:31], -v[142:143]
	v_add_f64 v[44:45], v[136:137], v[44:45]
	v_add_f64 v[46:47], v[138:139], v[46:47]
	v_fma_f64 v[136:137], v[132:133], s[18:19], v[144:145]
	v_fma_f64 v[138:139], v[134:135], s[18:19], -v[146:147]
	v_mul_f64 v[144:145], v[48:49], s[26:27]
	v_mul_f64 v[146:147], v[50:51], s[26:27]
	v_add_f64 v[17:18], v[140:141], v[17:18]
	v_add_f64 v[19:20], v[142:143], v[19:20]
	v_mul_f64 v[140:141], v[48:49], s[38:39]
	v_mul_f64 v[142:143], v[50:51], s[38:39]
	v_add_f64 v[1:2], v[136:137], v[1:2]
	v_add_f64 v[3:4], v[138:139], v[3:4]
	v_fma_f64 v[136:137], v[132:133], s[14:15], -v[144:145]
	v_fma_f64 v[138:139], v[134:135], s[14:15], v[146:147]
	v_add_f64 v[40:41], v[152:153], v[40:41]
	v_add_f64 v[42:43], v[154:155], v[42:43]
	v_fma_f64 v[152:153], v[132:133], s[16:17], -v[140:141]
	v_fma_f64 v[154:155], v[134:135], s[16:17], v[142:143]
	v_fma_f64 v[140:141], v[132:133], s[16:17], v[140:141]
	v_fma_f64 v[142:143], v[134:135], s[16:17], -v[142:143]
	v_mul_f64 v[48:49], v[48:49], s[24:25]
	v_mul_f64 v[50:51], v[50:51], s[24:25]
	v_add_f64 v[33:34], v[136:137], v[33:34]
	v_add_f64 v[35:36], v[138:139], v[35:36]
	v_add_f64 v[136:137], v[126:127], -v[130:131]
	v_add_f64 v[138:139], v[124:125], -v[128:129]
	v_add_f64 v[25:26], v[140:141], v[25:26]
	v_add_f64 v[27:28], v[142:143], v[27:28]
	v_fma_f64 v[140:141], v[132:133], s[14:15], v[144:145]
	v_fma_f64 v[142:143], v[134:135], s[14:15], -v[146:147]
	v_fma_f64 v[144:145], v[132:133], s[22:23], -v[48:49]
	v_fma_f64 v[146:147], v[134:135], s[22:23], v[50:51]
	v_add_f64 v[124:125], v[124:125], v[128:129]
	v_add_f64 v[126:127], v[126:127], v[130:131]
	v_mul_f64 v[128:129], v[136:137], s[20:21]
	v_mul_f64 v[130:131], v[138:139], s[20:21]
	v_fma_f64 v[48:49], v[132:133], s[22:23], v[48:49]
	v_fma_f64 v[50:51], v[134:135], s[22:23], -v[50:51]
	v_add_f64 v[9:10], v[140:141], v[9:10]
	v_add_f64 v[11:12], v[142:143], v[11:12]
	v_add_f64 v[132:133], v[144:145], v[148:149]
	v_add_f64 v[134:135], v[146:147], v[150:151]
	v_fma_f64 v[140:141], v[124:125], s[18:19], -v[128:129]
	v_fma_f64 v[142:143], v[126:127], s[18:19], v[130:131]
	v_add_f64 v[5:6], v[48:49], v[5:6]
	v_add_f64 v[7:8], v[50:51], v[7:8]
	v_mul_f64 v[48:49], v[136:137], s[40:41]
	v_mul_f64 v[50:51], v[138:139], s[40:41]
	v_fma_f64 v[128:129], v[124:125], s[18:19], v[128:129]
	v_fma_f64 v[130:131], v[126:127], s[18:19], -v[130:131]
	v_add_f64 v[29:30], v[140:141], v[29:30]
	v_add_f64 v[31:32], v[142:143], v[31:32]
	v_mul_f64 v[140:141], v[136:137], s[38:39]
	v_mul_f64 v[142:143], v[138:139], s[38:39]
	v_fma_f64 v[144:145], v[124:125], s[22:23], -v[48:49]
	v_fma_f64 v[146:147], v[126:127], s[22:23], v[50:51]
	v_fma_f64 v[48:49], v[124:125], s[22:23], v[48:49]
	v_fma_f64 v[50:51], v[126:127], s[22:23], -v[50:51]
	s_mov_b32 s45, 0x3fcea1e5
	s_mov_b32 s44, s28
	v_add_f64 v[21:22], v[160:161], v[21:22]
	v_add_f64 v[23:24], v[162:163], v[23:24]
	;; [unrolled: 1-line block ×4, first 2 shown]
	v_fma_f64 v[128:129], v[124:125], s[16:17], -v[140:141]
	v_fma_f64 v[130:131], v[126:127], s[16:17], v[142:143]
	v_add_f64 v[40:41], v[144:145], v[40:41]
	v_add_f64 v[42:43], v[146:147], v[42:43]
	v_mul_f64 v[144:145], v[136:137], s[36:37]
	v_mul_f64 v[146:147], v[138:139], s[36:37]
	v_add_f64 v[17:18], v[48:49], v[17:18]
	v_add_f64 v[19:20], v[50:51], v[19:20]
	v_fma_f64 v[48:49], v[124:125], s[16:17], v[140:141]
	v_fma_f64 v[50:51], v[126:127], s[16:17], -v[142:143]
	v_mul_f64 v[140:141], v[136:137], s[44:45]
	v_mul_f64 v[142:143], v[138:139], s[44:45]
	v_add_f64 v[21:22], v[152:153], v[21:22]
	v_add_f64 v[23:24], v[154:155], v[23:24]
	;; [unrolled: 1-line block ×4, first 2 shown]
	v_fma_f64 v[128:129], v[124:125], s[0:1], -v[144:145]
	v_fma_f64 v[130:131], v[126:127], s[0:1], v[146:147]
	v_add_f64 v[1:2], v[48:49], v[1:2]
	v_add_f64 v[3:4], v[50:51], v[3:4]
	v_fma_f64 v[48:49], v[124:125], s[30:31], -v[140:141]
	v_fma_f64 v[50:51], v[126:127], s[30:31], v[142:143]
	s_mov_b32 s43, 0x3fea55e2
	s_mov_b32 s42, s26
	v_add_f64 v[21:22], v[128:129], v[21:22]
	v_add_f64 v[23:24], v[130:131], v[23:24]
	v_mul_f64 v[128:129], v[136:137], s[42:43]
	v_mul_f64 v[130:131], v[138:139], s[42:43]
	v_add_f64 v[33:34], v[48:49], v[33:34]
	v_add_f64 v[35:36], v[50:51], v[35:36]
	v_add_f64 v[48:49], v[118:119], -v[122:123]
	v_add_f64 v[50:51], v[116:117], -v[120:121]
	v_fma_f64 v[136:137], v[124:125], s[30:31], v[140:141]
	v_fma_f64 v[138:139], v[126:127], s[30:31], -v[142:143]
	v_fma_f64 v[140:141], v[124:125], s[14:15], -v[128:129]
	v_fma_f64 v[142:143], v[126:127], s[14:15], v[130:131]
	v_add_f64 v[116:117], v[116:117], v[120:121]
	v_add_f64 v[118:119], v[118:119], v[122:123]
	v_mul_f64 v[120:121], v[48:49], s[24:25]
	v_mul_f64 v[122:123], v[50:51], s[24:25]
	v_fma_f64 v[144:145], v[124:125], s[0:1], v[144:145]
	v_fma_f64 v[146:147], v[126:127], s[0:1], -v[146:147]
	v_add_f64 v[9:10], v[136:137], v[9:10]
	v_add_f64 v[11:12], v[138:139], v[11:12]
	v_fma_f64 v[124:125], v[124:125], s[14:15], v[128:129]
	v_fma_f64 v[126:127], v[126:127], s[14:15], -v[130:131]
	v_add_f64 v[128:129], v[140:141], v[132:133]
	v_add_f64 v[130:131], v[142:143], v[134:135]
	v_fma_f64 v[132:133], v[116:117], s[22:23], -v[120:121]
	v_fma_f64 v[134:135], v[118:119], s[22:23], v[122:123]
	v_mul_f64 v[136:137], v[48:49], s[34:35]
	v_mul_f64 v[138:139], v[50:51], s[34:35]
	v_fma_f64 v[120:121], v[116:117], s[22:23], v[120:121]
	v_fma_f64 v[122:123], v[118:119], s[22:23], -v[122:123]
	v_add_f64 v[5:6], v[124:125], v[5:6]
	v_add_f64 v[7:8], v[126:127], v[7:8]
	;; [unrolled: 1-line block ×4, first 2 shown]
	v_mul_f64 v[132:133], v[48:49], s[26:27]
	v_mul_f64 v[134:135], v[50:51], s[26:27]
	v_add_f64 v[13:14], v[120:121], v[13:14]
	v_add_f64 v[15:16], v[122:123], v[15:16]
	v_fma_f64 v[120:121], v[116:117], s[0:1], v[136:137]
	v_fma_f64 v[122:123], v[118:119], s[0:1], -v[138:139]
	v_fma_f64 v[124:125], v[116:117], s[0:1], -v[136:137]
	v_fma_f64 v[126:127], v[118:119], s[0:1], v[138:139]
	v_mul_f64 v[136:137], v[48:49], s[44:45]
	v_mul_f64 v[138:139], v[50:51], s[44:45]
	v_add_f64 v[25:26], v[144:145], v[25:26]
	v_add_f64 v[27:28], v[146:147], v[27:28]
	;; [unrolled: 1-line block ×4, first 2 shown]
	v_fma_f64 v[120:121], v[116:117], s[14:15], v[132:133]
	v_fma_f64 v[122:123], v[118:119], s[14:15], -v[134:135]
	v_add_f64 v[40:41], v[124:125], v[40:41]
	v_add_f64 v[42:43], v[126:127], v[42:43]
	v_fma_f64 v[124:125], v[116:117], s[14:15], -v[132:133]
	v_fma_f64 v[126:127], v[118:119], s[14:15], v[134:135]
	v_mul_f64 v[132:133], v[48:49], s[38:39]
	v_mul_f64 v[134:135], v[50:51], s[38:39]
	v_add_f64 v[1:2], v[120:121], v[1:2]
	v_add_f64 v[3:4], v[122:123], v[3:4]
	v_fma_f64 v[120:121], v[116:117], s[30:31], v[136:137]
	v_fma_f64 v[122:123], v[118:119], s[30:31], -v[138:139]
	v_mul_f64 v[48:49], v[48:49], s[20:21]
	v_mul_f64 v[50:51], v[50:51], s[20:21]
	v_add_f64 v[44:45], v[124:125], v[44:45]
	v_add_f64 v[46:47], v[126:127], v[46:47]
	v_fma_f64 v[124:125], v[116:117], s[30:31], -v[136:137]
	v_fma_f64 v[126:127], v[118:119], s[30:31], v[138:139]
	v_add_f64 v[25:26], v[120:121], v[25:26]
	v_add_f64 v[27:28], v[122:123], v[27:28]
	v_add_f64 v[136:137], v[82:83], -v[114:115]
	v_add_f64 v[138:139], v[80:81], -v[112:113]
	v_fma_f64 v[120:121], v[116:117], s[18:19], -v[48:49]
	v_fma_f64 v[122:123], v[118:119], s[18:19], v[50:51]
	v_fma_f64 v[48:49], v[116:117], s[18:19], v[48:49]
	v_fma_f64 v[50:51], v[118:119], s[18:19], -v[50:51]
	v_add_f64 v[144:145], v[80:81], v[112:113]
	v_add_f64 v[146:147], v[82:83], v[114:115]
	v_mul_f64 v[80:81], v[136:137], s[28:29]
	v_mul_f64 v[82:83], v[138:139], s[28:29]
	v_add_f64 v[21:22], v[124:125], v[21:22]
	v_add_f64 v[23:24], v[126:127], v[23:24]
	;; [unrolled: 1-line block ×6, first 2 shown]
	v_fma_f64 v[124:125], v[116:117], s[16:17], -v[132:133]
	v_fma_f64 v[126:127], v[118:119], s[16:17], v[134:135]
	v_fma_f64 v[132:133], v[116:117], s[16:17], v[132:133]
	v_fma_f64 v[134:135], v[118:119], s[16:17], -v[134:135]
	v_fma_f64 v[112:113], v[144:145], s[30:31], -v[80:81]
	v_fma_f64 v[114:115], v[146:147], s[30:31], v[82:83]
	v_fma_f64 v[80:81], v[144:145], s[30:31], v[80:81]
	v_fma_f64 v[82:83], v[146:147], s[30:31], -v[82:83]
	v_mul_f64 v[116:117], v[136:137], s[38:39]
	v_mul_f64 v[118:119], v[138:139], s[38:39]
	v_add_f64 v[48:49], v[48:49], v[96:97]
	v_add_f64 v[50:51], v[50:51], v[98:99]
	;; [unrolled: 1-line block ×8, first 2 shown]
	v_fma_f64 v[13:14], v[144:145], s[16:17], -v[116:117]
	v_fma_f64 v[15:16], v[146:147], s[16:17], v[118:119]
	v_add_f64 v[29:30], v[48:49], v[76:77]
	v_add_f64 v[31:32], v[50:51], v[78:79]
	v_fma_f64 v[48:49], v[144:145], s[16:17], v[116:117]
	v_fma_f64 v[50:51], v[146:147], s[16:17], -v[118:119]
	v_mul_f64 v[116:117], v[136:137], s[24:25]
	v_mul_f64 v[118:119], v[138:139], s[24:25]
	v_add_f64 v[128:129], v[13:14], v[40:41]
	v_add_f64 v[130:131], v[15:16], v[42:43]
	;; [unrolled: 1-line block ×6, first 2 shown]
	v_fma_f64 v[29:30], v[144:145], s[22:23], v[116:117]
	v_fma_f64 v[31:32], v[146:147], s[22:23], -v[118:119]
	v_fma_f64 v[17:18], v[144:145], s[22:23], -v[116:117]
	v_fma_f64 v[19:20], v[146:147], s[22:23], v[118:119]
	v_add_f64 v[13:14], v[13:14], v[60:61]
	v_add_f64 v[15:16], v[15:16], v[62:63]
	v_mul_f64 v[40:41], v[136:137], s[42:43]
	v_mul_f64 v[42:43], v[138:139], s[42:43]
	v_add_f64 v[116:117], v[29:30], v[1:2]
	v_add_f64 v[118:119], v[31:32], v[3:4]
	;; [unrolled: 1-line block ×8, first 2 shown]
	v_fma_f64 v[13:14], v[144:145], s[14:15], -v[40:41]
	v_fma_f64 v[15:16], v[146:147], s[14:15], v[42:43]
	v_mul_f64 v[17:18], v[136:137], s[20:21]
	v_mul_f64 v[19:20], v[138:139], s[20:21]
	v_add_f64 v[1:2], v[1:2], v[56:57]
	v_add_f64 v[3:4], v[3:4], v[58:59]
	;; [unrolled: 1-line block ×6, first 2 shown]
	v_fma_f64 v[13:14], v[144:145], s[18:19], -v[17:18]
	v_fma_f64 v[15:16], v[146:147], s[18:19], v[19:20]
	v_add_f64 v[1:2], v[1:2], v[64:65]
	v_add_f64 v[3:4], v[3:4], v[66:67]
	v_fma_f64 v[17:18], v[144:145], s[18:19], v[17:18]
	v_fma_f64 v[19:20], v[146:147], s[18:19], -v[19:20]
	v_fma_f64 v[29:30], v[144:145], s[14:15], v[40:41]
	v_fma_f64 v[31:32], v[146:147], s[14:15], -v[42:43]
	v_add_f64 v[188:189], v[13:14], v[33:34]
	v_add_f64 v[190:191], v[15:16], v[35:36]
	v_mul_f64 v[13:14], v[136:137], s[34:35]
	v_mul_f64 v[15:16], v[138:139], s[34:35]
	v_add_f64 v[1:2], v[1:2], v[72:73]
	v_add_f64 v[3:4], v[3:4], v[74:75]
	;; [unrolled: 1-line block ×4, first 2 shown]
	v_add_f64 v[9:10], v[102:103], -v[110:111]
	v_add_f64 v[11:12], v[100:101], -v[108:109]
	v_add_f64 v[124:125], v[29:30], v[25:26]
	v_add_f64 v[126:127], v[31:32], v[27:28]
	v_fma_f64 v[17:18], v[144:145], s[0:1], -v[13:14]
	v_fma_f64 v[19:20], v[146:147], s[0:1], v[15:16]
	v_add_f64 v[1:2], v[1:2], v[92:93]
	v_add_f64 v[3:4], v[3:4], v[94:95]
	;; [unrolled: 1-line block ×4, first 2 shown]
	v_mul_f64 v[25:26], v[9:10], s[46:47]
	v_mul_f64 v[27:28], v[11:12], s[46:47]
	v_fma_f64 v[13:14], v[144:145], s[0:1], v[13:14]
	v_fma_f64 v[15:16], v[146:147], s[0:1], -v[15:16]
	v_add_f64 v[1:2], v[1:2], v[104:105]
	v_add_f64 v[3:4], v[3:4], v[106:107]
	v_add_f64 v[196:197], v[17:18], v[148:149]
	v_add_f64 v[198:199], v[19:20], v[150:151]
	v_fma_f64 v[17:18], v[21:22], s[16:17], -v[25:26]
	v_fma_f64 v[19:20], v[23:24], s[16:17], v[27:28]
	v_add_f64 v[192:193], v[13:14], v[5:6]
	v_add_f64 v[194:195], v[15:16], v[7:8]
	;; [unrolled: 1-line block ×4, first 2 shown]
	v_mul_f64 v[1:2], v[9:10], s[26:27]
	v_mul_f64 v[3:4], v[11:12], s[26:27]
	v_add_f64 v[5:6], v[88:89], v[17:18]
	v_add_f64 v[7:8], v[90:91], v[19:20]
	v_mul_f64 v[17:18], v[9:10], s[36:37]
	v_mul_f64 v[19:20], v[11:12], s[36:37]
	;; [unrolled: 1-line block ×8, first 2 shown]
	v_fma_f64 v[13:14], v[21:22], s[16:17], v[25:26]
	v_fma_f64 v[15:16], v[23:24], s[16:17], -v[27:28]
	v_fma_f64 v[25:26], v[21:22], s[14:15], -v[1:2]
	v_fma_f64 v[27:28], v[23:24], s[14:15], v[3:4]
	v_fma_f64 v[1:2], v[21:22], s[14:15], v[1:2]
	v_fma_f64 v[3:4], v[23:24], s[14:15], -v[3:4]
	v_fma_f64 v[29:30], v[21:22], s[0:1], -v[17:18]
	v_fma_f64 v[31:32], v[23:24], s[0:1], v[19:20]
	v_fma_f64 v[17:18], v[21:22], s[0:1], v[17:18]
	v_fma_f64 v[19:20], v[23:24], s[0:1], -v[19:20]
	v_fma_f64 v[44:45], v[21:22], s[18:19], -v[33:34]
	v_fma_f64 v[46:47], v[23:24], s[18:19], v[35:36]
	v_fma_f64 v[33:34], v[21:22], s[18:19], v[33:34]
	v_fma_f64 v[35:36], v[23:24], s[18:19], -v[35:36]
	v_fma_f64 v[48:49], v[21:22], s[22:23], -v[40:41]
	v_fma_f64 v[50:51], v[23:24], s[22:23], v[42:43]
	v_add_f64 v[108:109], v[98:99], -v[106:107]
	v_add_f64 v[110:111], v[96:97], -v[104:105]
	v_fma_f64 v[40:41], v[21:22], s[22:23], v[40:41]
	v_fma_f64 v[42:43], v[23:24], s[22:23], -v[42:43]
	v_fma_f64 v[144:145], v[21:22], s[30:31], -v[9:10]
	v_fma_f64 v[146:147], v[23:24], s[30:31], v[11:12]
	v_fma_f64 v[9:10], v[21:22], s[30:31], v[9:10]
	v_fma_f64 v[11:12], v[23:24], s[30:31], -v[11:12]
	v_add_f64 v[13:14], v[88:89], v[13:14]
	v_add_f64 v[15:16], v[90:91], v[15:16]
	;; [unrolled: 1-line block ×18, first 2 shown]
	v_mul_f64 v[104:105], v[108:109], s[26:27]
	v_mul_f64 v[106:107], v[110:111], s[26:27]
	v_add_f64 v[21:22], v[88:89], v[40:41]
	v_add_f64 v[23:24], v[90:91], v[42:43]
	;; [unrolled: 1-line block ×6, first 2 shown]
	v_mul_f64 v[88:89], v[108:109], s[20:21]
	v_mul_f64 v[90:91], v[110:111], s[20:21]
	v_fma_f64 v[40:41], v[96:97], s[14:15], -v[104:105]
	v_fma_f64 v[42:43], v[98:99], s[14:15], v[106:107]
	s_load_dwordx2 s[4:5], s[4:5], 0x8
	s_waitcnt lgkmcnt(0)
	s_barrier
	v_fma_f64 v[148:149], v[96:97], s[18:19], -v[88:89]
	v_fma_f64 v[150:151], v[98:99], s[18:19], v[90:91]
	v_fma_f64 v[88:89], v[96:97], s[18:19], v[88:89]
	v_fma_f64 v[90:91], v[98:99], s[18:19], -v[90:91]
	v_add_f64 v[5:6], v[40:41], v[5:6]
	v_add_f64 v[7:8], v[42:43], v[7:8]
	v_fma_f64 v[40:41], v[96:97], s[14:15], v[104:105]
	v_fma_f64 v[42:43], v[98:99], s[14:15], -v[106:107]
	v_mul_f64 v[104:105], v[108:109], s[28:29]
	v_mul_f64 v[106:107], v[110:111], s[28:29]
	v_add_f64 v[1:2], v[88:89], v[1:2]
	v_add_f64 v[3:4], v[90:91], v[3:4]
	v_mul_f64 v[88:89], v[108:109], s[40:41]
	v_mul_f64 v[90:91], v[110:111], s[40:41]
	v_add_f64 v[13:14], v[40:41], v[13:14]
	v_add_f64 v[15:16], v[42:43], v[15:16]
	v_fma_f64 v[40:41], v[96:97], s[30:31], -v[104:105]
	v_fma_f64 v[42:43], v[98:99], s[30:31], v[106:107]
	v_add_f64 v[25:26], v[148:149], v[25:26]
	v_add_f64 v[27:28], v[150:151], v[27:28]
	v_fma_f64 v[148:149], v[96:97], s[22:23], -v[88:89]
	v_fma_f64 v[150:151], v[98:99], s[22:23], v[90:91]
	v_fma_f64 v[88:89], v[96:97], s[22:23], v[88:89]
	v_fma_f64 v[90:91], v[98:99], s[22:23], -v[90:91]
	v_add_f64 v[29:30], v[40:41], v[29:30]
	v_add_f64 v[31:32], v[42:43], v[31:32]
	v_mul_f64 v[40:41], v[108:109], s[34:35]
	v_mul_f64 v[42:43], v[110:111], s[34:35]
	v_fma_f64 v[104:105], v[96:97], s[30:31], v[104:105]
	v_fma_f64 v[106:107], v[98:99], s[30:31], -v[106:107]
	v_add_f64 v[33:34], v[88:89], v[33:34]
	v_add_f64 v[35:36], v[90:91], v[35:36]
	v_add_f64 v[88:89], v[78:79], -v[94:95]
	v_add_f64 v[90:91], v[76:77], -v[92:93]
	v_fma_f64 v[152:153], v[96:97], s[0:1], -v[40:41]
	v_fma_f64 v[154:155], v[98:99], s[0:1], v[42:43]
	v_add_f64 v[17:18], v[104:105], v[17:18]
	v_add_f64 v[19:20], v[106:107], v[19:20]
	v_mul_f64 v[104:105], v[108:109], s[38:39]
	v_mul_f64 v[106:107], v[110:111], s[38:39]
	v_fma_f64 v[40:41], v[96:97], s[0:1], v[40:41]
	v_fma_f64 v[42:43], v[98:99], s[0:1], -v[42:43]
	v_add_f64 v[76:77], v[76:77], v[92:93]
	v_add_f64 v[78:79], v[78:79], v[94:95]
	v_mul_f64 v[92:93], v[88:89], s[36:37]
	v_mul_f64 v[94:95], v[90:91], s[36:37]
	v_fma_f64 v[108:109], v[96:97], s[16:17], -v[104:105]
	v_fma_f64 v[110:111], v[98:99], s[16:17], v[106:107]
	v_fma_f64 v[96:97], v[96:97], s[16:17], v[104:105]
	v_fma_f64 v[98:99], v[98:99], s[16:17], -v[106:107]
	v_add_f64 v[21:22], v[40:41], v[21:22]
	v_add_f64 v[23:24], v[42:43], v[23:24]
	v_fma_f64 v[40:41], v[76:77], s[0:1], -v[92:93]
	v_fma_f64 v[42:43], v[78:79], s[0:1], v[94:95]
	v_add_f64 v[104:105], v[108:109], v[144:145]
	v_add_f64 v[106:107], v[110:111], v[146:147]
	;; [unrolled: 1-line block ×4, first 2 shown]
	v_mul_f64 v[96:97], v[88:89], s[28:29]
	v_mul_f64 v[98:99], v[90:91], s[28:29]
	v_add_f64 v[5:6], v[40:41], v[5:6]
	v_add_f64 v[7:8], v[42:43], v[7:8]
	v_fma_f64 v[40:41], v[76:77], s[0:1], v[92:93]
	v_fma_f64 v[42:43], v[78:79], s[0:1], -v[94:95]
	v_mul_f64 v[92:93], v[88:89], s[48:49]
	v_mul_f64 v[94:95], v[90:91], s[48:49]
	v_fma_f64 v[108:109], v[76:77], s[30:31], -v[96:97]
	v_fma_f64 v[110:111], v[78:79], s[30:31], v[98:99]
	v_fma_f64 v[96:97], v[76:77], s[30:31], v[96:97]
	v_fma_f64 v[98:99], v[78:79], s[30:31], -v[98:99]
	v_add_f64 v[13:14], v[40:41], v[13:14]
	v_add_f64 v[15:16], v[42:43], v[15:16]
	v_fma_f64 v[40:41], v[76:77], s[18:19], -v[92:93]
	v_fma_f64 v[42:43], v[78:79], s[18:19], v[94:95]
	v_fma_f64 v[92:93], v[76:77], s[18:19], v[92:93]
	v_fma_f64 v[94:95], v[78:79], s[18:19], -v[94:95]
	v_add_f64 v[1:2], v[96:97], v[1:2]
	v_add_f64 v[3:4], v[98:99], v[3:4]
	v_mul_f64 v[96:97], v[88:89], s[38:39]
	v_mul_f64 v[98:99], v[90:91], s[38:39]
	v_add_f64 v[29:30], v[40:41], v[29:30]
	v_add_f64 v[31:32], v[42:43], v[31:32]
	v_mul_f64 v[40:41], v[88:89], s[26:27]
	v_mul_f64 v[42:43], v[90:91], s[26:27]
	v_add_f64 v[17:18], v[92:93], v[17:18]
	v_add_f64 v[19:20], v[94:95], v[19:20]
	v_add_f64 v[92:93], v[70:71], -v[74:75]
	v_add_f64 v[94:95], v[68:69], -v[72:73]
	v_add_f64 v[25:26], v[108:109], v[25:26]
	v_add_f64 v[27:28], v[110:111], v[27:28]
	v_fma_f64 v[108:109], v[76:77], s[16:17], -v[96:97]
	v_fma_f64 v[110:111], v[78:79], s[16:17], v[98:99]
	v_fma_f64 v[96:97], v[76:77], s[16:17], v[96:97]
	v_fma_f64 v[98:99], v[78:79], s[16:17], -v[98:99]
	v_fma_f64 v[144:145], v[76:77], s[14:15], -v[40:41]
	v_fma_f64 v[146:147], v[78:79], s[14:15], v[42:43]
	v_mul_f64 v[88:89], v[88:89], s[24:25]
	v_mul_f64 v[90:91], v[90:91], s[24:25]
	v_fma_f64 v[40:41], v[76:77], s[14:15], v[40:41]
	v_fma_f64 v[42:43], v[78:79], s[14:15], -v[42:43]
	v_add_f64 v[68:69], v[68:69], v[72:73]
	v_add_f64 v[70:71], v[70:71], v[74:75]
	v_mul_f64 v[72:73], v[92:93], s[20:21]
	v_mul_f64 v[74:75], v[94:95], s[20:21]
	v_add_f64 v[33:34], v[96:97], v[33:34]
	v_add_f64 v[35:36], v[98:99], v[35:36]
	v_fma_f64 v[96:97], v[76:77], s[22:23], -v[88:89]
	v_fma_f64 v[98:99], v[78:79], s[22:23], v[90:91]
	v_fma_f64 v[76:77], v[76:77], s[22:23], v[88:89]
	v_fma_f64 v[78:79], v[78:79], s[22:23], -v[90:91]
	v_add_f64 v[21:22], v[40:41], v[21:22]
	v_add_f64 v[23:24], v[42:43], v[23:24]
	v_fma_f64 v[40:41], v[68:69], s[18:19], -v[72:73]
	v_fma_f64 v[42:43], v[70:71], s[18:19], v[74:75]
	v_add_f64 v[88:89], v[96:97], v[104:105]
	v_add_f64 v[90:91], v[98:99], v[106:107]
	;; [unrolled: 1-line block ×4, first 2 shown]
	v_mul_f64 v[76:77], v[92:93], s[40:41]
	v_mul_f64 v[78:79], v[94:95], s[40:41]
	v_add_f64 v[5:6], v[40:41], v[5:6]
	v_add_f64 v[7:8], v[42:43], v[7:8]
	v_fma_f64 v[40:41], v[68:69], s[18:19], v[72:73]
	v_fma_f64 v[42:43], v[70:71], s[18:19], -v[74:75]
	v_mul_f64 v[72:73], v[92:93], s[38:39]
	v_mul_f64 v[74:75], v[94:95], s[38:39]
	v_fma_f64 v[96:97], v[68:69], s[22:23], -v[76:77]
	v_fma_f64 v[98:99], v[70:71], s[22:23], v[78:79]
	v_fma_f64 v[76:77], v[68:69], s[22:23], v[76:77]
	v_fma_f64 v[78:79], v[70:71], s[22:23], -v[78:79]
	v_add_f64 v[13:14], v[40:41], v[13:14]
	v_add_f64 v[15:16], v[42:43], v[15:16]
	v_fma_f64 v[40:41], v[68:69], s[16:17], -v[72:73]
	v_fma_f64 v[42:43], v[70:71], s[16:17], v[74:75]
	v_add_f64 v[48:49], v[152:153], v[48:49]
	v_add_f64 v[50:51], v[154:155], v[50:51]
	;; [unrolled: 1-line block ×4, first 2 shown]
	v_mul_f64 v[76:77], v[92:93], s[36:37]
	v_mul_f64 v[78:79], v[94:95], s[36:37]
	v_add_f64 v[29:30], v[40:41], v[29:30]
	v_add_f64 v[31:32], v[42:43], v[31:32]
	v_fma_f64 v[40:41], v[68:69], s[16:17], v[72:73]
	v_fma_f64 v[42:43], v[70:71], s[16:17], -v[74:75]
	v_mul_f64 v[72:73], v[92:93], s[44:45]
	v_mul_f64 v[74:75], v[94:95], s[44:45]
	v_add_f64 v[48:49], v[144:145], v[48:49]
	v_add_f64 v[50:51], v[146:147], v[50:51]
	;; [unrolled: 1-line block ×4, first 2 shown]
	v_fma_f64 v[96:97], v[68:69], s[0:1], -v[76:77]
	v_fma_f64 v[98:99], v[70:71], s[0:1], v[78:79]
	v_fma_f64 v[76:77], v[68:69], s[0:1], v[76:77]
	v_fma_f64 v[78:79], v[70:71], s[0:1], -v[78:79]
	v_add_f64 v[17:18], v[40:41], v[17:18]
	v_add_f64 v[19:20], v[42:43], v[19:20]
	v_fma_f64 v[40:41], v[68:69], s[30:31], -v[72:73]
	v_fma_f64 v[42:43], v[70:71], s[30:31], v[74:75]
	v_fma_f64 v[72:73], v[68:69], s[30:31], v[72:73]
	v_fma_f64 v[74:75], v[70:71], s[30:31], -v[74:75]
	v_add_f64 v[33:34], v[76:77], v[33:34]
	v_add_f64 v[35:36], v[78:79], v[35:36]
	v_mul_f64 v[76:77], v[92:93], s[42:43]
	v_mul_f64 v[78:79], v[94:95], s[42:43]
	v_add_f64 v[40:41], v[40:41], v[48:49]
	v_add_f64 v[42:43], v[42:43], v[50:51]
	v_add_f64 v[48:49], v[62:63], -v[66:67]
	v_add_f64 v[50:51], v[60:61], -v[64:65]
	v_add_f64 v[60:61], v[60:61], v[64:65]
	v_add_f64 v[62:63], v[62:63], v[66:67]
	v_fma_f64 v[92:93], v[68:69], s[14:15], -v[76:77]
	v_fma_f64 v[94:95], v[70:71], s[14:15], v[78:79]
	v_fma_f64 v[68:69], v[68:69], s[14:15], v[76:77]
	v_fma_f64 v[70:71], v[70:71], s[14:15], -v[78:79]
	v_mul_f64 v[64:65], v[48:49], s[24:25]
	v_mul_f64 v[66:67], v[50:51], s[24:25]
	v_add_f64 v[44:45], v[148:149], v[44:45]
	v_add_f64 v[46:47], v[150:151], v[46:47]
	;; [unrolled: 1-line block ×6, first 2 shown]
	v_fma_f64 v[76:77], v[60:61], s[22:23], -v[64:65]
	v_fma_f64 v[78:79], v[62:63], s[22:23], v[66:67]
	v_mul_f64 v[68:69], v[48:49], s[34:35]
	v_mul_f64 v[70:71], v[50:51], s[34:35]
	v_fma_f64 v[64:65], v[60:61], s[22:23], v[64:65]
	v_fma_f64 v[66:67], v[62:63], s[22:23], -v[66:67]
	v_add_f64 v[72:73], v[92:93], v[88:89]
	v_add_f64 v[74:75], v[94:95], v[90:91]
	;; [unrolled: 1-line block ×4, first 2 shown]
	v_mul_f64 v[76:77], v[48:49], s[26:27]
	v_mul_f64 v[78:79], v[50:51], s[26:27]
	v_fma_f64 v[88:89], v[60:61], s[0:1], -v[68:69]
	v_fma_f64 v[90:91], v[62:63], s[0:1], v[70:71]
	v_add_f64 v[13:14], v[64:65], v[13:14]
	v_add_f64 v[15:16], v[66:67], v[15:16]
	v_fma_f64 v[64:65], v[60:61], s[0:1], v[68:69]
	v_fma_f64 v[66:67], v[62:63], s[0:1], -v[70:71]
	v_add_f64 v[44:45], v[108:109], v[44:45]
	v_add_f64 v[46:47], v[110:111], v[46:47]
	v_fma_f64 v[68:69], v[60:61], s[14:15], -v[76:77]
	v_fma_f64 v[70:71], v[62:63], s[14:15], v[78:79]
	v_add_f64 v[25:26], v[88:89], v[25:26]
	v_add_f64 v[27:28], v[90:91], v[27:28]
	v_mul_f64 v[88:89], v[48:49], s[44:45]
	v_mul_f64 v[90:91], v[50:51], s[44:45]
	v_add_f64 v[1:2], v[64:65], v[1:2]
	v_add_f64 v[3:4], v[66:67], v[3:4]
	v_fma_f64 v[64:65], v[60:61], s[14:15], v[76:77]
	v_fma_f64 v[66:67], v[62:63], s[14:15], -v[78:79]
	v_mul_f64 v[76:77], v[48:49], s[38:39]
	v_mul_f64 v[78:79], v[50:51], s[38:39]
	v_add_f64 v[44:45], v[96:97], v[44:45]
	v_add_f64 v[46:47], v[98:99], v[46:47]
	;; [unrolled: 1-line block ×4, first 2 shown]
	v_fma_f64 v[68:69], v[60:61], s[30:31], -v[88:89]
	v_fma_f64 v[70:71], v[62:63], s[30:31], v[90:91]
	v_add_f64 v[17:18], v[64:65], v[17:18]
	v_add_f64 v[19:20], v[66:67], v[19:20]
	v_fma_f64 v[64:65], v[60:61], s[16:17], -v[76:77]
	v_fma_f64 v[66:67], v[62:63], s[16:17], v[78:79]
	v_mul_f64 v[48:49], v[48:49], s[20:21]
	v_mul_f64 v[50:51], v[50:51], s[20:21]
	v_add_f64 v[44:45], v[68:69], v[44:45]
	v_add_f64 v[46:47], v[70:71], v[46:47]
	v_fma_f64 v[68:69], v[60:61], s[16:17], v[76:77]
	v_fma_f64 v[70:71], v[62:63], s[16:17], -v[78:79]
	v_add_f64 v[40:41], v[64:65], v[40:41]
	v_add_f64 v[42:43], v[66:67], v[42:43]
	v_add_f64 v[64:65], v[54:55], -v[58:59]
	v_add_f64 v[66:67], v[52:53], -v[56:57]
	v_add_f64 v[52:53], v[52:53], v[56:57]
	v_add_f64 v[54:55], v[54:55], v[58:59]
	;; [unrolled: 1-line block ×4, first 2 shown]
	v_fma_f64 v[68:69], v[60:61], s[18:19], -v[48:49]
	v_fma_f64 v[70:71], v[62:63], s[18:19], v[50:51]
	v_mul_f64 v[56:57], v[64:65], s[28:29]
	v_mul_f64 v[58:59], v[66:67], s[28:29]
	v_fma_f64 v[48:49], v[60:61], s[18:19], v[48:49]
	v_fma_f64 v[50:51], v[62:63], s[18:19], -v[50:51]
	v_fma_f64 v[88:89], v[60:61], s[30:31], v[88:89]
	v_fma_f64 v[90:91], v[62:63], s[30:31], -v[90:91]
	v_add_f64 v[60:61], v[68:69], v[72:73]
	v_add_f64 v[62:63], v[70:71], v[74:75]
	v_mul_f64 v[68:69], v[64:65], s[38:39]
	v_mul_f64 v[70:71], v[66:67], s[38:39]
	v_fma_f64 v[72:73], v[52:53], s[30:31], -v[56:57]
	v_fma_f64 v[74:75], v[54:55], s[30:31], v[58:59]
	v_add_f64 v[9:10], v[48:49], v[9:10]
	v_add_f64 v[11:12], v[50:51], v[11:12]
	v_fma_f64 v[48:49], v[52:53], s[30:31], v[56:57]
	v_fma_f64 v[50:51], v[54:55], s[30:31], -v[58:59]
	v_fma_f64 v[56:57], v[52:53], s[16:17], -v[68:69]
	v_fma_f64 v[58:59], v[54:55], s[16:17], v[70:71]
	v_add_f64 v[96:97], v[72:73], v[5:6]
	v_add_f64 v[98:99], v[74:75], v[7:8]
	v_mul_f64 v[5:6], v[64:65], s[24:25]
	v_mul_f64 v[7:8], v[66:67], s[24:25]
	v_add_f64 v[184:185], v[48:49], v[13:14]
	v_add_f64 v[186:187], v[50:51], v[15:16]
	v_fma_f64 v[13:14], v[52:53], s[16:17], v[68:69]
	v_fma_f64 v[15:16], v[54:55], s[16:17], -v[70:71]
	v_mul_f64 v[48:49], v[64:65], s[42:43]
	v_mul_f64 v[50:51], v[66:67], s[42:43]
	v_add_f64 v[168:169], v[56:57], v[25:26]
	v_add_f64 v[170:171], v[58:59], v[27:28]
	v_fma_f64 v[25:26], v[52:53], s[22:23], -v[5:6]
	v_fma_f64 v[27:28], v[54:55], s[22:23], v[7:8]
	v_fma_f64 v[5:6], v[52:53], s[22:23], v[5:6]
	v_fma_f64 v[7:8], v[54:55], s[22:23], -v[7:8]
	v_add_f64 v[180:181], v[13:14], v[1:2]
	v_add_f64 v[182:183], v[15:16], v[3:4]
	v_fma_f64 v[1:2], v[52:53], s[14:15], -v[48:49]
	v_fma_f64 v[3:4], v[54:55], s[14:15], v[50:51]
	v_add_f64 v[33:34], v[88:89], v[33:34]
	v_add_f64 v[35:36], v[90:91], v[35:36]
	;; [unrolled: 1-line block ×4, first 2 shown]
	v_fma_f64 v[5:6], v[52:53], s[14:15], v[48:49]
	v_fma_f64 v[7:8], v[54:55], s[14:15], -v[50:51]
	v_mul_f64 v[13:14], v[64:65], s[20:21]
	v_mul_f64 v[15:16], v[66:67], s[20:21]
	v_add_f64 v[156:157], v[1:2], v[44:45]
	v_add_f64 v[158:159], v[3:4], v[46:47]
	v_mul_f64 v[1:2], v[64:65], s[34:35]
	v_mul_f64 v[3:4], v[66:67], s[34:35]
	v_add_f64 v[172:173], v[5:6], v[33:34]
	v_add_f64 v[174:175], v[7:8], v[35:36]
	v_fma_f64 v[5:6], v[52:53], s[18:19], -v[13:14]
	v_fma_f64 v[7:8], v[54:55], s[18:19], v[15:16]
	v_fma_f64 v[13:14], v[52:53], s[18:19], v[13:14]
	v_fma_f64 v[15:16], v[54:55], s[18:19], -v[15:16]
	v_fma_f64 v[17:18], v[52:53], s[0:1], -v[1:2]
	v_fma_f64 v[19:20], v[54:55], s[0:1], v[3:4]
	v_fma_f64 v[1:2], v[52:53], s[0:1], v[1:2]
	v_fma_f64 v[3:4], v[54:55], s[0:1], -v[3:4]
	v_add_f64 v[160:161], v[25:26], v[29:30]
	v_add_f64 v[162:163], v[27:28], v[31:32]
	;; [unrolled: 1-line block ×10, first 2 shown]
	v_mul_lo_u16_e32 v1, 13, v39
	v_lshl_add_u32 v40, v1, 4, v220
	v_mul_u32_u24_e32 v1, 13, v0
	ds_write_b128 v40, v[84:87]
	ds_write_b128 v40, v[120:123] offset:16
	ds_write_b128 v40, v[128:131] offset:32
	;; [unrolled: 1-line block ×12, first 2 shown]
	buffer_store_dword v1, off, s[52:55], 0 offset:252 ; 4-byte Folded Spill
	s_and_saveexec_b64 s[0:1], vcc
	s_cbranch_execz .LBB0_7
; %bb.6:
	v_mul_u32_u24_e32 v1, 13, v0
	v_lshl_add_u32 v1, v1, 4, v220
	ds_write_b128 v1, v[100:103]
	ds_write_b128 v1, v[96:99] offset:16
	ds_write_b128 v1, v[168:171] offset:32
	;; [unrolled: 1-line block ×12, first 2 shown]
.LBB0_7:
	s_or_b64 exec, exec, s[0:1]
	s_waitcnt vmcnt(0) lgkmcnt(0)
	s_barrier
	ds_read_b128 v[112:115], v38
	ds_read_b128 v[108:111], v38 offset:624
	ds_read_b128 v[136:139], v38 offset:2912
	;; [unrolled: 1-line block ×11, first 2 shown]
	v_cmp_gt_u16_e64 s[0:1], 26, v39
	s_and_saveexec_b64 s[14:15], s[0:1]
	s_cbranch_execz .LBB0_9
; %bb.8:
	ds_read_b128 v[80:83], v38 offset:2496
	ds_read_b128 v[100:103], v38 offset:5408
	;; [unrolled: 1-line block ×3, first 2 shown]
.LBB0_9:
	s_or_b64 exec, exec, s[14:15]
	s_movk_i32 s12, 0x4f
	v_mul_lo_u16_sdwa v1, v39, s12 dst_sel:DWORD dst_unused:UNUSED_PAD src0_sel:BYTE_0 src1_sel:DWORD
	v_lshrrev_b16_e32 v55, 10, v1
	v_mul_lo_u16_e32 v1, 13, v55
	v_sub_u16_e32 v196, v39, v1
	v_mov_b32_e32 v1, 5
	v_lshlrev_b32_sdwa v2, v1, v196 dst_sel:DWORD dst_unused:UNUSED_PAD src0_sel:DWORD src1_sel:BYTE_0
	global_load_dwordx4 v[60:63], v2, s[4:5] offset:16
	global_load_dwordx4 v[64:67], v2, s[4:5]
	v_mul_lo_u16_sdwa v2, v0, s12 dst_sel:DWORD dst_unused:UNUSED_PAD src0_sel:BYTE_0 src1_sel:DWORD
	v_lshrrev_b16_e32 v197, 10, v2
	v_mul_lo_u16_e32 v2, 13, v197
	v_sub_u16_e32 v198, v0, v2
	v_lshlrev_b32_sdwa v0, v1, v198 dst_sel:DWORD dst_unused:UNUSED_PAD src0_sel:DWORD src1_sel:BYTE_0
	global_load_dwordx4 v[68:71], v0, s[4:5] offset:16
	global_load_dwordx4 v[72:75], v0, s[4:5]
	v_add_u16_e32 v0, 0x4e, v39
	v_mul_lo_u16_sdwa v2, v0, s12 dst_sel:DWORD dst_unused:UNUSED_PAD src0_sel:BYTE_0 src1_sel:DWORD
	v_lshrrev_b16_e32 v199, 10, v2
	v_mul_lo_u16_e32 v2, 13, v199
	v_sub_u16_e32 v200, v0, v2
	v_lshlrev_b32_sdwa v0, v1, v200 dst_sel:DWORD dst_unused:UNUSED_PAD src0_sel:DWORD src1_sel:BYTE_0
	global_load_dwordx4 v[76:79], v0, s[4:5] offset:16
	global_load_dwordx4 v[84:87], v0, s[4:5]
	v_add_u16_e32 v0, 0x75, v39
	;; [unrolled: 8-line block ×3, first 2 shown]
	v_mul_lo_u16_sdwa v2, v0, s12 dst_sel:DWORD dst_unused:UNUSED_PAD src0_sel:BYTE_0 src1_sel:DWORD
	v_lshrrev_b16_e32 v203, 10, v2
	v_mul_lo_u16_e32 v2, 13, v203
	v_sub_u16_e32 v0, v0, v2
	buffer_store_dword v0, off, s[52:55], 0 offset:212 ; 4-byte Folded Spill
	v_lshlrev_b32_sdwa v0, v1, v0 dst_sel:DWORD dst_unused:UNUSED_PAD src0_sel:DWORD src1_sel:BYTE_0
	global_load_dwordx4 v[56:59], v0, s[4:5]
	global_load_dwordx4 v[204:207], v0, s[4:5] offset:16
	s_mov_b32 s14, 0xe8584caa
	s_mov_b32 s15, 0x3febb67a
	;; [unrolled: 1-line block ×4, first 2 shown]
	s_waitcnt vmcnt(10) lgkmcnt(7)
	v_mul_f64 v[4:5], v[142:143], v[62:63]
	s_waitcnt vmcnt(9)
	v_mul_f64 v[0:1], v[138:139], v[66:67]
	v_mul_f64 v[2:3], v[136:137], v[66:67]
	;; [unrolled: 1-line block ×3, first 2 shown]
	s_waitcnt vmcnt(8) lgkmcnt(6)
	v_mul_f64 v[14:15], v[124:125], v[70:71]
	s_waitcnt vmcnt(7)
	v_mul_f64 v[10:11], v[120:121], v[74:75]
	v_mul_f64 v[8:9], v[122:123], v[74:75]
	v_fma_f64 v[43:44], v[136:137], v[64:65], -v[0:1]
	v_mul_f64 v[12:13], v[126:127], v[70:71]
	v_fma_f64 v[45:46], v[138:139], v[64:65], v[2:3]
	v_fma_f64 v[47:48], v[140:141], v[60:61], -v[4:5]
	s_waitcnt vmcnt(6) lgkmcnt(1)
	v_mul_f64 v[20:21], v[194:195], v[78:79]
	s_waitcnt vmcnt(5)
	v_mul_f64 v[16:17], v[190:191], v[86:87]
	v_mul_f64 v[18:19], v[188:189], v[86:87]
	;; [unrolled: 1-line block ×3, first 2 shown]
	v_fma_f64 v[10:11], v[122:123], v[72:73], v[10:11]
	v_fma_f64 v[14:15], v[126:127], v[68:69], v[14:15]
	;; [unrolled: 1-line block ×3, first 2 shown]
	s_waitcnt vmcnt(4) lgkmcnt(0)
	v_mul_f64 v[28:29], v[134:135], v[90:91]
	s_waitcnt vmcnt(3)
	v_mul_f64 v[24:25], v[130:131], v[94:95]
	v_mul_f64 v[26:27], v[128:129], v[94:95]
	v_fma_f64 v[8:9], v[120:121], v[72:73], -v[8:9]
	v_fma_f64 v[12:13], v[124:125], v[68:69], -v[12:13]
	;; [unrolled: 1-line block ×4, first 2 shown]
	v_mul_f64 v[30:31], v[132:133], v[90:91]
	s_waitcnt vmcnt(1)
	v_mul_f64 v[32:33], v[102:103], v[58:59]
	s_waitcnt vmcnt(0)
	v_mul_f64 v[36:37], v[98:99], v[206:207]
	v_mul_f64 v[41:42], v[96:97], v[206:207]
	;; [unrolled: 1-line block ×3, first 2 shown]
	v_fma_f64 v[18:19], v[190:191], v[84:85], v[18:19]
	v_fma_f64 v[53:54], v[194:195], v[76:77], v[22:23]
	v_fma_f64 v[120:121], v[128:129], v[92:93], -v[24:25]
	v_fma_f64 v[122:123], v[130:131], v[92:93], v[26:27]
	v_fma_f64 v[124:125], v[132:133], v[88:89], -v[28:29]
	v_fma_f64 v[0:1], v[96:97], v[204:205], -v[36:37]
	buffer_store_dword v204, off, s[52:55], 0 offset:236 ; 4-byte Folded Spill
	s_nop 0
	buffer_store_dword v205, off, s[52:55], 0 offset:240 ; 4-byte Folded Spill
	buffer_store_dword v206, off, s[52:55], 0 offset:244 ; 4-byte Folded Spill
	buffer_store_dword v207, off, s[52:55], 0 offset:248 ; 4-byte Folded Spill
	v_add_f64 v[36:37], v[10:11], -v[14:15]
	v_fma_f64 v[2:3], v[100:101], v[56:57], -v[32:33]
	v_fma_f64 v[6:7], v[102:103], v[56:57], v[34:35]
	v_add_f64 v[20:21], v[112:113], v[43:44]
	v_add_f64 v[22:23], v[43:44], v[47:48]
	v_add_f64 v[26:27], v[45:46], -v[49:50]
	v_add_f64 v[24:25], v[114:115], v[45:46]
	v_add_f64 v[28:29], v[45:46], v[49:50]
	;; [unrolled: 1-line block ×5, first 2 shown]
	v_fma_f64 v[126:127], v[134:135], v[88:89], v[30:31]
	v_add_f64 v[8:9], v[8:9], -v[12:13]
	v_add_f64 v[96:97], v[18:19], v[53:54]
	v_add_f64 v[30:31], v[43:44], -v[47:48]
	v_add_f64 v[43:44], v[116:117], v[16:17]
	v_add_f64 v[102:103], v[18:19], -v[53:54]
	v_add_f64 v[130:131], v[16:17], -v[51:52]
	v_add_f64 v[16:17], v[20:21], v[47:48]
	v_fma_f64 v[47:48], v[22:23], -0.5, v[112:113]
	v_add_f64 v[20:21], v[32:33], v[12:13]
	v_fma_f64 v[12:13], v[34:35], -0.5, v[108:109]
	v_add_f64 v[128:129], v[118:119], v[18:19]
	v_add_f64 v[18:19], v[24:25], v[49:50]
	v_fma_f64 v[49:50], v[28:29], -0.5, v[114:115]
	v_add_f64 v[100:101], v[43:44], v[51:52]
	v_add_f64 v[43:44], v[122:123], -v[126:127]
	v_fma_f64 v[24:25], v[26:27], s[14:15], v[47:48]
	v_fma_f64 v[28:29], v[26:27], s[16:17], v[47:48]
	;; [unrolled: 1-line block ×3, first 2 shown]
	s_waitcnt vmcnt(0)
	s_barrier
	v_fma_f64 v[26:27], v[30:31], s[16:17], v[49:50]
	v_fma_f64 v[30:31], v[30:31], s[14:15], v[49:50]
	v_add_f64 v[49:50], v[120:121], -v[124:125]
	v_fma_f64 v[4:5], v[98:99], v[204:205], v[41:42]
	v_add_f64 v[41:42], v[110:111], v[10:11]
	v_add_f64 v[10:11], v[10:11], v[14:15]
	;; [unrolled: 1-line block ×3, first 2 shown]
	v_fma_f64 v[10:11], v[10:11], -0.5, v[110:111]
	v_fma_f64 v[14:15], v[45:46], -0.5, v[116:117]
	;; [unrolled: 1-line block ×3, first 2 shown]
	v_fma_f64 v[96:97], v[36:37], s[16:17], v[12:13]
	v_add_f64 v[12:13], v[2:3], v[0:1]
	v_add_f64 v[36:37], v[104:105], v[120:121]
	;; [unrolled: 1-line block ×3, first 2 shown]
	v_fma_f64 v[34:35], v[8:9], s[16:17], v[10:11]
	v_fma_f64 v[98:99], v[8:9], s[14:15], v[10:11]
	v_add_f64 v[8:9], v[120:121], v[124:125]
	v_add_f64 v[10:11], v[122:123], v[126:127]
	v_fma_f64 v[108:109], v[102:103], s[14:15], v[14:15]
	v_fma_f64 v[112:113], v[102:103], s[16:17], v[14:15]
	v_add_f64 v[14:15], v[6:7], v[4:5]
	v_fma_f64 v[110:111], v[130:131], s[16:17], v[41:42]
	v_fma_f64 v[114:115], v[130:131], s[14:15], v[41:42]
	v_add_f64 v[102:103], v[128:129], v[53:54]
	v_fma_f64 v[41:42], v[8:9], -0.5, v[104:105]
	v_fma_f64 v[47:48], v[10:11], -0.5, v[106:107]
	v_fma_f64 v[8:9], v[12:13], -0.5, v[80:81]
	v_add_f64 v[12:13], v[6:7], -v[4:5]
	v_fma_f64 v[10:11], v[14:15], -0.5, v[82:83]
	v_add_f64 v[14:15], v[2:3], -v[0:1]
	v_add_f64 v[104:105], v[36:37], v[124:125]
	v_mul_u32_u24_e32 v36, 39, v55
	v_add_u32_sdwa v36, v36, v196 dst_sel:DWORD dst_unused:UNUSED_PAD src0_sel:DWORD src1_sel:BYTE_0
	v_lshl_add_u32 v36, v36, 4, v220
	ds_write_b128 v36, v[16:19]
	ds_write_b128 v36, v[24:27] offset:208
	v_mul_u32_u24_e32 v16, 39, v197
	v_fma_f64 v[120:121], v[43:44], s[16:17], v[41:42]
	v_add_f64 v[106:107], v[45:46], v[126:127]
	v_fma_f64 v[122:123], v[49:50], s[14:15], v[47:48]
	v_add_u32_sdwa v16, v16, v198 dst_sel:DWORD dst_unused:UNUSED_PAD src0_sel:DWORD src1_sel:BYTE_0
	v_fma_f64 v[116:117], v[43:44], s[14:15], v[41:42]
	v_fma_f64 v[118:119], v[49:50], s[16:17], v[47:48]
	;; [unrolled: 1-line block ×4, first 2 shown]
	v_lshl_add_u32 v16, v16, 4, v220
	buffer_store_dword v36, off, s[52:55], 0 offset:220 ; 4-byte Folded Spill
	ds_write_b128 v36, v[28:31] offset:416
	ds_write_b128 v16, v[20:23]
	ds_write_b128 v16, v[32:35] offset:208
	buffer_store_dword v16, off, s[52:55], 0 offset:224 ; 4-byte Folded Spill
	ds_write_b128 v16, v[96:99] offset:416
	v_mul_u32_u24_e32 v16, 39, v199
	v_add_u32_sdwa v16, v16, v200 dst_sel:DWORD dst_unused:UNUSED_PAD src0_sel:DWORD src1_sel:BYTE_0
	v_lshl_add_u32 v16, v16, 4, v220
	ds_write_b128 v16, v[100:103]
	ds_write_b128 v16, v[108:111] offset:208
	buffer_store_dword v16, off, s[52:55], 0 offset:228 ; 4-byte Folded Spill
	ds_write_b128 v16, v[112:115] offset:416
	v_mul_u32_u24_e32 v16, 39, v201
	v_add_u32_sdwa v16, v16, v202 dst_sel:DWORD dst_unused:UNUSED_PAD src0_sel:DWORD src1_sel:BYTE_0
	v_lshl_add_u32 v16, v16, 4, v220
	ds_write_b128 v16, v[104:107]
	ds_write_b128 v16, v[116:119] offset:208
	buffer_store_dword v16, off, s[52:55], 0 offset:232 ; 4-byte Folded Spill
	ds_write_b128 v16, v[120:123] offset:416
	v_mul_u32_u24_e32 v16, 39, v203
	buffer_store_dword v16, off, s[52:55], 0 offset:216 ; 4-byte Folded Spill
	s_and_saveexec_b64 s[16:17], s[0:1]
	s_cbranch_execz .LBB0_11
; %bb.10:
	v_add_f64 v[6:7], v[82:83], v[6:7]
	v_add_f64 v[16:17], v[80:81], v[2:3]
	v_mul_f64 v[12:13], v[12:13], s[14:15]
	v_mul_f64 v[14:15], v[14:15], s[14:15]
	v_add_f64 v[6:7], v[6:7], v[4:5]
	v_add_f64 v[4:5], v[16:17], v[0:1]
	;; [unrolled: 1-line block ×3, first 2 shown]
	buffer_load_dword v8, off, s[52:55], 0 offset:212 ; 4-byte Folded Reload
	buffer_load_dword v9, off, s[52:55], 0 offset:216 ; 4-byte Folded Reload
	v_add_f64 v[2:3], v[10:11], -v[14:15]
	s_waitcnt vmcnt(0)
	v_add_u32_sdwa v8, v9, v8 dst_sel:DWORD dst_unused:UNUSED_PAD src0_sel:DWORD src1_sel:BYTE_0
	v_lshl_add_u32 v8, v8, 4, v220
	ds_write_b128 v8, v[4:7]
	ds_write_b128 v8, v[0:3] offset:208
	ds_write_b128 v8, v[192:195] offset:416
.LBB0_11:
	s_or_b64 exec, exec, s[16:17]
	v_mov_b32_e32 v0, s13
	v_addc_co_u32_e64 v26, s[2:3], 0, v0, s[2:3]
	v_mov_b32_e32 v0, s4
	s_movk_i32 s2, 0x60
	v_mov_b32_e32 v1, s5
	v_mad_u64_u32 v[0:1], s[2:3], v39, s2, v[0:1]
	s_waitcnt vmcnt(0) lgkmcnt(0)
	s_barrier
	ds_read_b128 v[27:30], v38
	ds_read_b128 v[2:5], v38 offset:1248
	ds_read_b128 v[6:9], v38 offset:2496
	;; [unrolled: 1-line block ×13, first 2 shown]
	global_load_dwordx4 v[96:99], v[0:1], off offset:464
	global_load_dwordx4 v[100:103], v[0:1], off offset:448
	;; [unrolled: 1-line block ×6, first 2 shown]
	s_mov_b32 s2, 0x37e14327
	s_mov_b32 s4, 0x36b3c0b5
	;; [unrolled: 1-line block ×20, first 2 shown]
	s_waitcnt vmcnt(0) lgkmcnt(0)
	s_barrier
	v_lshl_add_u32 v255, v39, 4, v220
	v_mul_f64 v[35:36], v[4:5], v[110:111]
	v_fma_f64 v[35:36], v[2:3], v[108:109], -v[35:36]
	v_mul_f64 v[2:3], v[2:3], v[110:111]
	v_fma_f64 v[41:42], v[4:5], v[108:109], v[2:3]
	v_mul_f64 v[2:3], v[8:9], v[106:107]
	v_mul_f64 v[4:5], v[31:32], v[110:111]
	v_fma_f64 v[43:44], v[6:7], v[104:105], -v[2:3]
	v_mul_f64 v[2:3], v[6:7], v[106:107]
	v_mul_f64 v[6:7], v[120:121], v[106:107]
	v_fma_f64 v[45:46], v[8:9], v[104:105], v[2:3]
	v_mul_f64 v[2:3], v[12:13], v[102:103]
	v_fma_f64 v[8:9], v[33:34], v[108:109], v[4:5]
	v_mul_f64 v[4:5], v[122:123], v[106:107]
	v_fma_f64 v[47:48], v[10:11], v[100:101], -v[2:3]
	v_mul_f64 v[2:3], v[10:11], v[102:103]
	v_fma_f64 v[4:5], v[120:121], v[104:105], -v[4:5]
	v_fma_f64 v[10:11], v[122:123], v[104:105], v[6:7]
	v_mul_f64 v[6:7], v[126:127], v[102:103]
	v_fma_f64 v[49:50], v[12:13], v[100:101], v[2:3]
	v_mul_f64 v[2:3], v[16:17], v[98:99]
	v_mul_f64 v[12:13], v[124:125], v[102:103]
	v_fma_f64 v[6:7], v[124:125], v[100:101], -v[6:7]
	v_fma_f64 v[51:52], v[14:15], v[96:97], -v[2:3]
	v_mul_f64 v[2:3], v[14:15], v[98:99]
	v_fma_f64 v[12:13], v[126:127], v[100:101], v[12:13]
	v_mul_f64 v[14:15], v[130:131], v[98:99]
	v_add_f64 v[124:125], v[47:48], v[51:52]
	v_fma_f64 v[53:54], v[16:17], v[96:97], v[2:3]
	v_mul_f64 v[2:3], v[20:21], v[114:115]
	v_mul_f64 v[16:17], v[128:129], v[98:99]
	v_add_f64 v[47:48], v[51:52], -v[47:48]
	v_fma_f64 v[14:15], v[128:129], v[96:97], -v[14:15]
	v_add_f64 v[126:127], v[49:50], v[53:54]
	v_fma_f64 v[140:141], v[18:19], v[112:113], -v[2:3]
	v_mul_f64 v[2:3], v[18:19], v[114:115]
	v_mul_f64 v[18:19], v[134:135], v[114:115]
	v_add_f64 v[49:50], v[53:54], -v[49:50]
	v_fma_f64 v[16:17], v[130:131], v[96:97], v[16:17]
	v_add_f64 v[120:121], v[43:44], v[140:141]
	v_fma_f64 v[142:143], v[20:21], v[112:113], v[2:3]
	v_mul_f64 v[2:3], v[24:25], v[82:83]
	v_mul_f64 v[20:21], v[132:133], v[114:115]
	v_add_f64 v[43:44], v[43:44], -v[140:141]
	v_fma_f64 v[18:19], v[132:133], v[112:113], -v[18:19]
	v_add_f64 v[132:133], v[124:125], -v[120:121]
	v_add_f64 v[122:123], v[45:46], v[142:143]
	v_fma_f64 v[188:189], v[22:23], v[80:81], -v[2:3]
	v_mul_f64 v[2:3], v[22:23], v[82:83]
	v_mul_f64 v[22:23], v[138:139], v[82:83]
	v_add_f64 v[45:46], v[45:46], -v[142:143]
	v_fma_f64 v[20:21], v[134:135], v[112:113], v[20:21]
	v_add_f64 v[134:135], v[126:127], -v[122:123]
	v_fma_f64 v[190:191], v[24:25], v[80:81], v[2:3]
	v_mul_f64 v[2:3], v[33:34], v[110:111]
	v_mul_f64 v[24:25], v[136:137], v[82:83]
	v_fma_f64 v[22:23], v[136:137], v[80:81], -v[22:23]
	v_add_f64 v[136:137], v[47:48], -v[43:44]
	v_add_f64 v[33:34], v[41:42], v[190:191]
	v_fma_f64 v[2:3], v[31:32], v[108:109], -v[2:3]
	v_add_f64 v[31:32], v[35:36], v[188:189]
	v_add_f64 v[35:36], v[35:36], -v[188:189]
	v_add_f64 v[41:42], v[41:42], -v[190:191]
	v_fma_f64 v[24:25], v[138:139], v[80:81], v[24:25]
	v_add_f64 v[138:139], v[49:50], -v[45:46]
	v_add_f64 v[53:54], v[122:123], v[33:34]
	v_add_f64 v[130:131], v[122:123], -v[33:34]
	v_add_f64 v[51:52], v[120:121], v[31:32]
	v_add_f64 v[128:129], v[120:121], -v[31:32]
	v_add_f64 v[31:32], v[31:32], -v[124:125]
	;; [unrolled: 1-line block ×3, first 2 shown]
	v_add_f64 v[120:121], v[47:48], v[43:44]
	v_add_f64 v[122:123], v[49:50], v[45:46]
	v_add_f64 v[43:44], v[43:44], -v[35:36]
	v_add_f64 v[45:46], v[45:46], -v[41:42]
	v_add_f64 v[51:52], v[124:125], v[51:52]
	v_add_f64 v[53:54], v[126:127], v[53:54]
	v_add_f64 v[47:48], v[35:36], -v[47:48]
	v_add_f64 v[49:50], v[41:42], -v[49:50]
	v_add_f64 v[35:36], v[120:121], v[35:36]
	v_add_f64 v[41:42], v[122:123], v[41:42]
	v_mul_f64 v[124:125], v[136:137], s[14:15]
	v_mul_f64 v[126:127], v[138:139], s[14:15]
	v_add_f64 v[120:121], v[27:28], v[51:52]
	v_add_f64 v[122:123], v[29:30], v[53:54]
	v_mul_f64 v[27:28], v[31:32], s[2:3]
	v_mul_f64 v[29:30], v[33:34], s[2:3]
	;; [unrolled: 1-line block ×6, first 2 shown]
	v_fma_f64 v[51:52], v[51:52], s[16:17], v[120:121]
	v_fma_f64 v[53:54], v[53:54], s[16:17], v[122:123]
	;; [unrolled: 1-line block ×4, first 2 shown]
	v_fma_f64 v[31:32], v[128:129], s[18:19], -v[31:32]
	v_fma_f64 v[33:34], v[130:131], s[18:19], -v[33:34]
	;; [unrolled: 1-line block ×4, first 2 shown]
	v_fma_f64 v[128:129], v[47:48], s[24:25], v[124:125]
	v_fma_f64 v[130:131], v[49:50], s[24:25], v[126:127]
	v_fma_f64 v[43:44], v[43:44], s[12:13], -v[124:125]
	v_fma_f64 v[45:46], v[45:46], s[12:13], -v[126:127]
	v_fma_f64 v[47:48], v[47:48], s[26:27], -v[136:137]
	v_fma_f64 v[49:50], v[49:50], s[26:27], -v[138:139]
	v_add_f64 v[136:137], v[132:133], v[51:52]
	v_add_f64 v[138:139], v[134:135], v[53:54]
	;; [unrolled: 1-line block ×6, first 2 shown]
	v_fma_f64 v[140:141], v[35:36], s[22:23], v[128:129]
	v_fma_f64 v[142:143], v[41:42], s[22:23], v[130:131]
	;; [unrolled: 1-line block ×6, first 2 shown]
	v_add_f64 v[29:30], v[138:139], -v[140:141]
	v_add_f64 v[138:139], v[140:141], v[138:139]
	v_add_f64 v[126:127], v[43:44], v[134:135]
	v_add_f64 v[124:125], v[132:133], -v[45:46]
	v_add_f64 v[33:34], v[53:54], -v[35:36]
	v_add_f64 v[31:32], v[41:42], v[51:52]
	v_add_f64 v[128:129], v[45:46], v[132:133]
	v_add_f64 v[130:131], v[134:135], -v[43:44]
	v_add_f64 v[132:133], v[51:52], -v[41:42]
	v_add_f64 v[134:135], v[35:36], v[53:54]
	v_add_f64 v[35:36], v[2:3], v[22:23]
	;; [unrolled: 1-line block ×3, first 2 shown]
	v_add_f64 v[2:3], v[2:3], -v[22:23]
	v_add_f64 v[8:9], v[8:9], -v[24:25]
	v_add_f64 v[22:23], v[4:5], v[18:19]
	v_add_f64 v[24:25], v[10:11], v[20:21]
	v_add_f64 v[4:5], v[4:5], -v[18:19]
	v_add_f64 v[10:11], v[10:11], -v[20:21]
	v_add_f64 v[18:19], v[6:7], v[14:15]
	v_add_f64 v[20:21], v[12:13], v[16:17]
	;; [unrolled: 4-line block ×3, first 2 shown]
	v_add_f64 v[43:44], v[22:23], -v[35:36]
	v_add_f64 v[45:46], v[24:25], -v[41:42]
	;; [unrolled: 1-line block ×6, first 2 shown]
	v_add_f64 v[47:48], v[6:7], v[4:5]
	v_add_f64 v[49:50], v[12:13], v[10:11]
	v_add_f64 v[51:52], v[6:7], -v[4:5]
	v_add_f64 v[53:54], v[12:13], -v[10:11]
	v_add_f64 v[140:141], v[4:5], -v[2:3]
	v_add_f64 v[14:15], v[18:19], v[14:15]
	v_add_f64 v[16:17], v[20:21], v[16:17]
	v_add_f64 v[10:11], v[10:11], -v[8:9]
	v_add_f64 v[6:7], v[2:3], -v[6:7]
	;; [unrolled: 1-line block ×3, first 2 shown]
	v_add_f64 v[18:19], v[47:48], v[2:3]
	v_add_f64 v[8:9], v[49:50], v[8:9]
	v_mul_f64 v[20:21], v[35:36], s[2:3]
	v_add_f64 v[2:3], v[116:117], v[14:15]
	v_add_f64 v[4:5], v[118:119], v[16:17]
	v_mul_f64 v[35:36], v[41:42], s[2:3]
	v_mul_f64 v[41:42], v[22:23], s[4:5]
	;; [unrolled: 1-line block ×7, first 2 shown]
	v_fma_f64 v[14:15], v[14:15], s[16:17], v[2:3]
	v_fma_f64 v[16:17], v[16:17], s[16:17], v[4:5]
	;; [unrolled: 1-line block ×4, first 2 shown]
	v_fma_f64 v[41:42], v[43:44], s[18:19], -v[41:42]
	v_fma_f64 v[47:48], v[45:46], s[18:19], -v[47:48]
	;; [unrolled: 1-line block ×4, first 2 shown]
	v_fma_f64 v[43:44], v[6:7], s[24:25], v[49:50]
	v_fma_f64 v[49:50], v[140:141], s[12:13], -v[49:50]
	v_fma_f64 v[6:7], v[6:7], s[26:27], -v[53:54]
	v_fma_f64 v[45:46], v[12:13], s[24:25], v[51:52]
	v_fma_f64 v[10:11], v[10:11], s[12:13], -v[51:52]
	v_fma_f64 v[12:13], v[12:13], s[26:27], -v[116:117]
	v_add_f64 v[51:52], v[22:23], v[14:15]
	v_add_f64 v[53:54], v[24:25], v[16:17]
	v_add_f64 v[22:23], v[41:42], v[14:15]
	v_add_f64 v[24:25], v[47:48], v[16:17]
	v_add_f64 v[41:42], v[20:21], v[14:15]
	v_add_f64 v[35:36], v[35:36], v[16:17]
	v_fma_f64 v[20:21], v[18:19], s[22:23], v[49:50]
	v_fma_f64 v[49:50], v[18:19], s[22:23], v[6:7]
	;; [unrolled: 1-line block ×6, first 2 shown]
	v_add_f64 v[27:28], v[142:143], v[136:137]
	s_movk_i32 s12, 0x1000
	v_add_f64 v[16:17], v[20:21], v[24:25]
	v_add_f64 v[12:13], v[35:36], -v[49:50]
	v_add_f64 v[20:21], v[24:25], -v[20:21]
	v_add_f64 v[24:25], v[49:50], v[35:36]
	v_mul_i32_i24_e32 v36, 0xffffffb0, v39
	v_mul_hi_i32_i24_e32 v35, 0xffffffb0, v39
	v_add_co_u32_e64 v0, s[2:3], v0, v36
	v_addc_co_u32_e64 v1, s[2:3], v1, v35, s[2:3]
	v_add_f64 v[136:137], v[136:137], -v[142:143]
	v_add_co_u32_e64 v0, s[2:3], s12, v0
	v_add_f64 v[6:7], v[45:46], v[51:52]
	v_add_f64 v[8:9], v[53:54], -v[43:44]
	v_add_f64 v[10:11], v[116:117], v[41:42]
	v_add_f64 v[14:15], v[22:23], -v[47:48]
	v_add_f64 v[18:19], v[47:48], v[22:23]
	v_add_f64 v[22:23], v[41:42], -v[116:117]
	v_add_f64 v[116:117], v[51:52], -v[45:46]
	v_add_f64 v[118:119], v[43:44], v[53:54]
	v_addc_co_u32_e64 v1, s[2:3], 0, v1, s[2:3]
	ds_write_b128 v38, v[120:123]
	ds_write_b128 v38, v[27:30] offset:624
	ds_write_b128 v38, v[31:34] offset:1248
	ds_write_b128 v38, v[124:127] offset:1872
	ds_write_b128 v38, v[128:131] offset:2496
	ds_write_b128 v38, v[132:135] offset:3120
	ds_write_b128 v38, v[136:139] offset:3744
	ds_write_b128 v38, v[2:5] offset:4368
	ds_write_b128 v38, v[6:9] offset:4992
	ds_write_b128 v38, v[10:13] offset:5616
	ds_write_b128 v38, v[14:17] offset:6240
	ds_write_b128 v38, v[18:21] offset:6864
	ds_write_b128 v38, v[22:25] offset:7488
	ds_write_b128 v38, v[116:119] offset:8112
	s_waitcnt lgkmcnt(0)
	s_barrier
	ds_read_b128 v[2:5], v38
	ds_read_b128 v[6:9], v38 offset:4368
	ds_read_b128 v[10:13], v38 offset:624
	;; [unrolled: 1-line block ×13, first 2 shown]
	global_load_dwordx4 v[116:119], v[0:1], off offset:64
	global_load_dwordx4 v[120:123], v[0:1], off offset:688
	;; [unrolled: 1-line block ×6, first 2 shown]
	s_movk_i32 s2, 0x2220
	s_movk_i32 s13, 0x2000
	buffer_store_dword v220, off, s[52:55], 0 offset:208 ; 4-byte Folded Spill
	s_waitcnt vmcnt(6) lgkmcnt(12)
	v_mul_f64 v[35:36], v[8:9], v[118:119]
	v_fma_f64 v[35:36], v[6:7], v[116:117], -v[35:36]
	v_mul_f64 v[6:7], v[6:7], v[118:119]
	v_fma_f64 v[8:9], v[8:9], v[116:117], v[6:7]
	s_waitcnt vmcnt(5) lgkmcnt(10)
	v_mul_f64 v[6:7], v[16:17], v[122:123]
	v_add_f64 v[8:9], v[4:5], -v[8:9]
	v_fma_f64 v[41:42], v[14:15], v[120:121], -v[6:7]
	v_mul_f64 v[6:7], v[14:15], v[122:123]
	v_add_f64 v[14:15], v[10:11], -v[41:42]
	v_fma_f64 v[16:17], v[16:17], v[120:121], v[6:7]
	s_waitcnt vmcnt(4) lgkmcnt(8)
	v_mul_f64 v[6:7], v[24:25], v[126:127]
	v_fma_f64 v[10:11], v[10:11], 2.0, -v[14:15]
	v_add_f64 v[16:17], v[12:13], -v[16:17]
	v_fma_f64 v[43:44], v[22:23], v[124:125], -v[6:7]
	v_mul_f64 v[6:7], v[22:23], v[126:127]
	v_fma_f64 v[12:13], v[12:13], 2.0, -v[16:17]
	v_add_f64 v[22:23], v[18:19], -v[43:44]
	v_fma_f64 v[24:25], v[24:25], v[124:125], v[6:7]
	s_waitcnt vmcnt(3) lgkmcnt(6)
	v_mul_f64 v[6:7], v[33:34], v[130:131]
	v_fma_f64 v[18:19], v[18:19], 2.0, -v[22:23]
	v_add_f64 v[24:25], v[20:21], -v[24:25]
	v_fma_f64 v[45:46], v[31:32], v[128:129], -v[6:7]
	v_mul_f64 v[6:7], v[31:32], v[130:131]
	v_fma_f64 v[20:21], v[20:21], 2.0, -v[24:25]
	;; [unrolled: 9-line block ×3, first 2 shown]
	v_fma_f64 v[49:50], v[138:139], v[132:133], v[6:7]
	global_load_dwordx4 v[136:139], v[0:1], off offset:3808
	s_waitcnt vmcnt(2) lgkmcnt(2)
	v_mul_f64 v[6:7], v[202:203], v[142:143]
	v_fma_f64 v[51:52], v[200:201], v[140:141], -v[6:7]
	v_mul_f64 v[6:7], v[200:201], v[142:143]
	v_add_f64 v[200:201], v[188:189], -v[47:48]
	v_add_f64 v[212:213], v[196:197], -v[51:52]
	v_fma_f64 v[53:54], v[202:203], v[140:141], v[6:7]
	v_add_f64 v[6:7], v[2:3], -v[35:36]
	v_add_f64 v[202:203], v[190:191], -v[49:50]
	v_fma_f64 v[196:197], v[196:197], 2.0, -v[212:213]
	v_add_f64 v[214:215], v[198:199], -v[53:54]
	v_fma_f64 v[198:199], v[198:199], 2.0, -v[214:215]
	s_waitcnt vmcnt(0) lgkmcnt(0)
	v_mul_f64 v[0:1], v[210:211], v[138:139]
	v_fma_f64 v[216:217], v[208:209], v[136:137], -v[0:1]
	v_mul_f64 v[0:1], v[208:209], v[138:139]
	v_fma_f64 v[208:209], v[188:189], 2.0, -v[200:201]
	v_add_f64 v[188:189], v[204:205], -v[216:217]
	v_fma_f64 v[218:219], v[210:211], v[136:137], v[0:1]
	v_fma_f64 v[0:1], v[2:3], 2.0, -v[6:7]
	v_fma_f64 v[2:3], v[4:5], 2.0, -v[8:9]
	;; [unrolled: 1-line block ×4, first 2 shown]
	v_add_f64 v[190:191], v[206:207], -v[218:219]
	ds_write_b128 v38, v[0:3]
	v_add_co_u32_e64 v0, s[2:3], s2, v252
	v_addc_co_u32_e64 v1, s[2:3], 0, v26, s[2:3]
	v_fma_f64 v[206:207], v[206:207], 2.0, -v[190:191]
	ds_write_b128 v255, v[6:9] offset:4368
	ds_write_b128 v255, v[10:13] offset:624
	;; [unrolled: 1-line block ×13, first 2 shown]
	v_add_co_u32_e64 v6, s[2:3], s13, v252
	v_addc_co_u32_e64 v7, s[2:3], 0, v26, s[2:3]
	s_waitcnt lgkmcnt(0)
	s_barrier
	global_load_dwordx4 v[6:9], v[6:7], off offset:544
	ds_read_b128 v[2:5], v38
	s_movk_i32 s2, 0x3000
	v_add_co_u32_e64 v14, s[2:3], s2, v252
	v_addc_co_u32_e64 v15, s[2:3], 0, v26, s[2:3]
	s_movk_i32 s2, 0x4000
	s_waitcnt vmcnt(0) lgkmcnt(0)
	v_mul_f64 v[10:11], v[4:5], v[8:9]
	v_fma_f64 v[10:11], v[2:3], v[6:7], -v[10:11]
	v_mul_f64 v[2:3], v[2:3], v[8:9]
	v_fma_f64 v[12:13], v[4:5], v[6:7], v[2:3]
	global_load_dwordx4 v[6:9], v[0:1], off offset:672
	ds_read_b128 v[2:5], v38 offset:672
	ds_write_b128 v38, v[10:13]
	s_waitcnt vmcnt(0) lgkmcnt(1)
	v_mul_f64 v[10:11], v[4:5], v[8:9]
	v_fma_f64 v[10:11], v[2:3], v[6:7], -v[10:11]
	v_mul_f64 v[2:3], v[2:3], v[8:9]
	v_fma_f64 v[12:13], v[4:5], v[6:7], v[2:3]
	global_load_dwordx4 v[6:9], v[0:1], off offset:1344
	ds_read_b128 v[2:5], v38 offset:1344
	ds_write_b128 v38, v[10:13] offset:672
	s_waitcnt vmcnt(0) lgkmcnt(1)
	v_mul_f64 v[10:11], v[4:5], v[8:9]
	v_fma_f64 v[10:11], v[2:3], v[6:7], -v[10:11]
	v_mul_f64 v[2:3], v[2:3], v[8:9]
	v_fma_f64 v[12:13], v[4:5], v[6:7], v[2:3]
	global_load_dwordx4 v[6:9], v[0:1], off offset:2016
	ds_read_b128 v[2:5], v38 offset:2016
	ds_write_b128 v38, v[10:13] offset:1344
	;; [unrolled: 8-line block ×10, first 2 shown]
	s_waitcnt vmcnt(0) lgkmcnt(1)
	v_mul_f64 v[10:11], v[4:5], v[8:9]
	v_fma_f64 v[10:11], v[2:3], v[6:7], -v[10:11]
	v_mul_f64 v[2:3], v[2:3], v[8:9]
	v_fma_f64 v[12:13], v[4:5], v[6:7], v[2:3]
	v_add_co_u32_e64 v6, s[2:3], s2, v252
	v_addc_co_u32_e64 v7, s[2:3], 0, v26, s[2:3]
	global_load_dwordx4 v[6:9], v[6:7], off offset:416
	ds_read_b128 v[2:5], v38 offset:8064
	ds_write_b128 v38, v[10:13] offset:7392
	s_waitcnt vmcnt(0) lgkmcnt(1)
	v_mul_f64 v[10:11], v[4:5], v[8:9]
	v_fma_f64 v[10:11], v[2:3], v[6:7], -v[10:11]
	v_mul_f64 v[2:3], v[2:3], v[8:9]
	v_fma_f64 v[12:13], v[4:5], v[6:7], v[2:3]
	ds_write_b128 v38, v[10:13] offset:8064
	s_and_saveexec_b64 s[4:5], vcc
	s_cbranch_execz .LBB0_13
; %bb.12:
	global_load_dwordx4 v[6:9], v[0:1], off offset:624
	ds_read_b128 v[2:5], v255 offset:624
	v_add_co_u32_e64 v14, s[2:3], s12, v0
	v_addc_co_u32_e64 v15, s[2:3], 0, v1, s[2:3]
	s_waitcnt vmcnt(0) lgkmcnt(0)
	v_mul_f64 v[10:11], v[4:5], v[8:9]
	v_fma_f64 v[10:11], v[2:3], v[6:7], -v[10:11]
	v_mul_f64 v[2:3], v[2:3], v[8:9]
	v_fma_f64 v[12:13], v[4:5], v[6:7], v[2:3]
	global_load_dwordx4 v[6:9], v[0:1], off offset:1296
	ds_read_b128 v[2:5], v255 offset:1296
	ds_write_b128 v255, v[10:13] offset:624
	s_waitcnt vmcnt(0) lgkmcnt(1)
	v_mul_f64 v[10:11], v[4:5], v[8:9]
	v_fma_f64 v[10:11], v[2:3], v[6:7], -v[10:11]
	v_mul_f64 v[2:3], v[2:3], v[8:9]
	v_fma_f64 v[12:13], v[4:5], v[6:7], v[2:3]
	global_load_dwordx4 v[6:9], v[0:1], off offset:1968
	ds_read_b128 v[2:5], v255 offset:1968
	ds_write_b128 v255, v[10:13] offset:1296
	;; [unrolled: 8-line block ×4, first 2 shown]
	s_waitcnt vmcnt(0) lgkmcnt(1)
	v_mul_f64 v[10:11], v[4:5], v[8:9]
	v_fma_f64 v[10:11], v[2:3], v[6:7], -v[10:11]
	v_mul_f64 v[2:3], v[2:3], v[8:9]
	v_fma_f64 v[12:13], v[4:5], v[6:7], v[2:3]
	global_load_dwordx4 v[6:9], v[0:1], off offset:3984
	ds_read_b128 v[2:5], v255 offset:3984
	v_add_co_u32_e64 v0, s[2:3], s13, v0
	v_addc_co_u32_e64 v1, s[2:3], 0, v1, s[2:3]
	ds_write_b128 v255, v[10:13] offset:3312
	s_waitcnt vmcnt(0) lgkmcnt(1)
	v_mul_f64 v[10:11], v[4:5], v[8:9]
	v_fma_f64 v[10:11], v[2:3], v[6:7], -v[10:11]
	v_mul_f64 v[2:3], v[2:3], v[8:9]
	v_fma_f64 v[12:13], v[4:5], v[6:7], v[2:3]
	global_load_dwordx4 v[6:9], v[14:15], off offset:560
	ds_read_b128 v[2:5], v255 offset:4656
	ds_write_b128 v255, v[10:13] offset:3984
	s_waitcnt vmcnt(0) lgkmcnt(1)
	v_mul_f64 v[10:11], v[4:5], v[8:9]
	v_fma_f64 v[10:11], v[2:3], v[6:7], -v[10:11]
	v_mul_f64 v[2:3], v[2:3], v[8:9]
	v_fma_f64 v[12:13], v[4:5], v[6:7], v[2:3]
	global_load_dwordx4 v[6:9], v[14:15], off offset:1232
	ds_read_b128 v[2:5], v255 offset:5328
	;; [unrolled: 8-line block ×7, first 2 shown]
	ds_write_b128 v255, v[10:13] offset:8016
	s_waitcnt vmcnt(0) lgkmcnt(1)
	v_mul_f64 v[0:1], v[4:5], v[8:9]
	v_fma_f64 v[0:1], v[2:3], v[6:7], -v[0:1]
	v_mul_f64 v[2:3], v[2:3], v[8:9]
	v_fma_f64 v[2:3], v[4:5], v[6:7], v[2:3]
	ds_write_b128 v255, v[0:3] offset:8688
.LBB0_13:
	s_or_b64 exec, exec, s[4:5]
	s_waitcnt lgkmcnt(0)
	s_barrier
	ds_read_b128 v[240:243], v38
	ds_read_b128 v[244:247], v38 offset:672
	ds_read_b128 v[232:235], v38 offset:1344
	;; [unrolled: 1-line block ×12, first 2 shown]
	s_and_saveexec_b64 s[2:3], vcc
	s_cbranch_execz .LBB0_15
; %bb.14:
	ds_read_b128 v[188:191], v255 offset:624
	ds_read_b128 v[192:195], v255 offset:1296
	;; [unrolled: 1-line block ×13, first 2 shown]
.LBB0_15:
	s_or_b64 exec, exec, s[2:3]
	s_waitcnt lgkmcnt(11)
	v_add_f64 v[0:1], v[240:241], v[244:245]
	v_add_f64 v[2:3], v[242:243], v[246:247]
	s_waitcnt lgkmcnt(0)
	v_add_f64 v[6:7], v[246:247], -v[250:251]
	s_mov_b32 s44, 0x4267c47c
	s_mov_b32 s16, 0x42a4c3d2
	;; [unrolled: 1-line block ×5, first 2 shown]
	v_add_f64 v[0:1], v[0:1], v[232:233]
	v_add_f64 v[2:3], v[2:3], v[234:235]
	s_mov_b32 s34, 0x4bc48dbf
	s_mov_b32 s45, 0xbfddbe06
	;; [unrolled: 1-line block ×6, first 2 shown]
	v_add_f64 v[0:1], v[0:1], v[224:225]
	v_add_f64 v[2:3], v[2:3], v[226:227]
	s_mov_b32 s35, 0xbfcea1e5
	v_mul_f64 v[8:9], v[6:7], s[44:45]
	v_mul_f64 v[16:17], v[6:7], s[16:17]
	;; [unrolled: 1-line block ×5, first 2 shown]
	v_add_f64 v[0:1], v[0:1], v[216:217]
	v_add_f64 v[2:3], v[2:3], v[218:219]
	v_mul_f64 v[6:7], v[6:7], s[34:35]
	s_mov_b32 s2, 0xe00740e9
	s_mov_b32 s4, 0x1ea71119
	;; [unrolled: 1-line block ×5, first 2 shown]
	v_add_f64 v[0:1], v[0:1], v[208:209]
	v_add_f64 v[2:3], v[2:3], v[210:211]
	s_mov_b32 s26, 0x93053d00
	s_mov_b32 s3, 0x3fec55a7
	;; [unrolled: 1-line block ×6, first 2 shown]
	v_add_f64 v[0:1], v[0:1], v[196:197]
	v_add_f64 v[2:3], v[2:3], v[198:199]
	s_mov_b32 s27, 0xbfef11f4
	v_add_f64 v[4:5], v[244:245], -v[248:249]
	s_mov_b32 s19, 0x3fddbe06
	s_mov_b32 s18, s44
	;; [unrolled: 1-line block ×4, first 2 shown]
	v_add_f64 v[0:1], v[0:1], v[200:201]
	v_add_f64 v[2:3], v[2:3], v[202:203]
	s_mov_b32 s23, 0x3fefc445
	s_mov_b32 s22, s28
	;; [unrolled: 1-line block ×6, first 2 shown]
	v_add_f64 v[0:1], v[0:1], v[212:213]
	v_add_f64 v[2:3], v[2:3], v[214:215]
	s_mov_b32 s43, 0x3fcea1e5
	s_mov_b32 s42, s34
	v_add_f64 v[0:1], v[0:1], v[220:221]
	v_add_f64 v[2:3], v[2:3], v[222:223]
	;; [unrolled: 1-line block ×12, first 2 shown]
	v_fma_f64 v[10:11], v[0:1], s[2:3], v[8:9]
	v_mul_f64 v[12:13], v[2:3], s[2:3]
	v_fma_f64 v[8:9], v[0:1], s[2:3], -v[8:9]
	v_fma_f64 v[18:19], v[0:1], s[4:5], v[16:17]
	v_mul_f64 v[20:21], v[2:3], s[4:5]
	v_fma_f64 v[16:17], v[0:1], s[4:5], -v[16:17]
	;; [unrolled: 3-line block ×6, first 2 shown]
	v_add_f64 v[6:7], v[234:235], v[238:239]
	v_add_f64 v[234:235], v[234:235], -v[238:239]
	v_fma_f64 v[14:15], v[4:5], s[18:19], v[12:13]
	v_fma_f64 v[12:13], v[4:5], s[44:45], v[12:13]
	;; [unrolled: 1-line block ×12, first 2 shown]
	v_add_f64 v[4:5], v[232:233], v[236:237]
	v_add_f64 v[232:233], v[232:233], -v[236:237]
	v_mul_f64 v[236:237], v[234:235], s[16:17]
	v_add_f64 v[10:11], v[240:241], v[10:11]
	v_add_f64 v[8:9], v[240:241], v[8:9]
	;; [unrolled: 1-line block ×7, first 2 shown]
	v_fma_f64 v[238:239], v[4:5], s[4:5], v[236:237]
	v_fma_f64 v[236:237], v[4:5], s[4:5], -v[236:237]
	v_add_f64 v[34:35], v[240:241], v[34:35]
	v_add_f64 v[32:33], v[240:241], v[32:33]
	;; [unrolled: 1-line block ×7, first 2 shown]
	v_mul_f64 v[238:239], v[6:7], s[4:5]
	v_add_f64 v[8:9], v[236:237], v[8:9]
	v_add_f64 v[20:21], v[242:243], v[20:21]
	;; [unrolled: 1-line block ×7, first 2 shown]
	v_fma_f64 v[236:237], v[232:233], s[16:17], v[238:239]
	v_fma_f64 v[240:241], v[232:233], s[40:41], v[238:239]
	v_add_f64 v[47:48], v[242:243], v[47:48]
	v_add_f64 v[2:3], v[242:243], v[2:3]
	;; [unrolled: 1-line block ×7, first 2 shown]
	v_mul_f64 v[236:237], v[234:235], s[24:25]
	v_add_f64 v[14:15], v[240:241], v[14:15]
	v_fma_f64 v[238:239], v[4:5], s[14:15], v[236:237]
	v_fma_f64 v[236:237], v[4:5], s[14:15], -v[236:237]
	v_add_f64 v[18:19], v[238:239], v[18:19]
	v_mul_f64 v[238:239], v[6:7], s[14:15]
	v_add_f64 v[16:17], v[236:237], v[16:17]
	v_fma_f64 v[236:237], v[232:233], s[24:25], v[238:239]
	v_fma_f64 v[240:241], v[232:233], s[36:37], v[238:239]
	v_add_f64 v[20:21], v[236:237], v[20:21]
	v_mul_f64 v[236:237], v[234:235], s[34:35]
	v_add_f64 v[22:23], v[240:241], v[22:23]
	v_fma_f64 v[238:239], v[4:5], s[26:27], v[236:237]
	v_fma_f64 v[236:237], v[4:5], s[26:27], -v[236:237]
	v_add_f64 v[26:27], v[238:239], v[26:27]
	v_mul_f64 v[238:239], v[6:7], s[26:27]
	v_add_f64 v[24:25], v[236:237], v[24:25]
	v_fma_f64 v[236:237], v[232:233], s[34:35], v[238:239]
	v_fma_f64 v[240:241], v[232:233], s[42:43], v[238:239]
	v_add_f64 v[28:29], v[236:237], v[28:29]
	;; [unrolled: 10-line block ×3, first 2 shown]
	v_mul_f64 v[236:237], v[234:235], s[22:23]
	v_mul_f64 v[234:235], v[234:235], s[18:19]
	v_add_f64 v[41:42], v[240:241], v[41:42]
	v_fma_f64 v[238:239], v[4:5], s[12:13], v[236:237]
	v_fma_f64 v[236:237], v[4:5], s[12:13], -v[236:237]
	v_add_f64 v[45:46], v[238:239], v[45:46]
	v_mul_f64 v[238:239], v[6:7], s[12:13]
	v_add_f64 v[43:44], v[236:237], v[43:44]
	v_mul_f64 v[6:7], v[6:7], s[2:3]
	v_fma_f64 v[236:237], v[232:233], s[22:23], v[238:239]
	v_fma_f64 v[240:241], v[232:233], s[28:29], v[238:239]
	v_add_f64 v[47:48], v[236:237], v[47:48]
	v_fma_f64 v[236:237], v[4:5], s[2:3], v[234:235]
	v_fma_f64 v[4:5], v[4:5], s[2:3], -v[234:235]
	v_add_f64 v[49:50], v[240:241], v[49:50]
	v_add_f64 v[240:241], v[192:193], v[184:185]
	;; [unrolled: 1-line block ×3, first 2 shown]
	v_fma_f64 v[236:237], v[232:233], s[44:45], v[6:7]
	v_add_f64 v[0:1], v[4:5], v[0:1]
	v_fma_f64 v[4:5], v[232:233], s[18:19], v[6:7]
	v_add_f64 v[6:7], v[226:227], v[230:231]
	v_add_f64 v[226:227], v[226:227], -v[230:231]
	v_add_f64 v[53:54], v[236:237], v[53:54]
	v_add_f64 v[2:3], v[4:5], v[2:3]
	;; [unrolled: 1-line block ×3, first 2 shown]
	v_add_f64 v[224:225], v[224:225], -v[228:229]
	v_mul_f64 v[228:229], v[226:227], s[28:29]
	v_fma_f64 v[230:231], v[4:5], s[12:13], v[228:229]
	v_fma_f64 v[228:229], v[4:5], s[12:13], -v[228:229]
	v_add_f64 v[10:11], v[230:231], v[10:11]
	v_mul_f64 v[230:231], v[6:7], s[12:13]
	v_add_f64 v[8:9], v[228:229], v[8:9]
	v_fma_f64 v[228:229], v[224:225], s[28:29], v[230:231]
	v_fma_f64 v[232:233], v[224:225], s[22:23], v[230:231]
	v_add_f64 v[12:13], v[228:229], v[12:13]
	v_mul_f64 v[228:229], v[226:227], s[34:35]
	v_add_f64 v[14:15], v[232:233], v[14:15]
	v_fma_f64 v[230:231], v[4:5], s[26:27], v[228:229]
	v_fma_f64 v[228:229], v[4:5], s[26:27], -v[228:229]
	v_add_f64 v[18:19], v[230:231], v[18:19]
	v_mul_f64 v[230:231], v[6:7], s[26:27]
	v_add_f64 v[16:17], v[228:229], v[16:17]
	v_fma_f64 v[228:229], v[224:225], s[34:35], v[230:231]
	v_fma_f64 v[232:233], v[224:225], s[42:43], v[230:231]
	v_add_f64 v[20:21], v[228:229], v[20:21]
	v_mul_f64 v[228:229], v[226:227], s[36:37]
	v_add_f64 v[22:23], v[232:233], v[22:23]
	v_fma_f64 v[230:231], v[4:5], s[14:15], v[228:229]
	v_fma_f64 v[228:229], v[4:5], s[14:15], -v[228:229]
	v_add_f64 v[26:27], v[230:231], v[26:27]
	v_mul_f64 v[230:231], v[6:7], s[14:15]
	v_add_f64 v[24:25], v[228:229], v[24:25]
	v_fma_f64 v[228:229], v[224:225], s[36:37], v[230:231]
	v_fma_f64 v[232:233], v[224:225], s[24:25], v[230:231]
	v_add_f64 v[28:29], v[228:229], v[28:29]
	v_mul_f64 v[228:229], v[226:227], s[18:19]
	v_add_f64 v[30:31], v[232:233], v[30:31]
	v_fma_f64 v[230:231], v[4:5], s[2:3], v[228:229]
	v_fma_f64 v[228:229], v[4:5], s[2:3], -v[228:229]
	v_add_f64 v[34:35], v[230:231], v[34:35]
	v_mul_f64 v[230:231], v[6:7], s[2:3]
	v_add_f64 v[32:33], v[228:229], v[32:33]
	v_fma_f64 v[228:229], v[224:225], s[18:19], v[230:231]
	v_fma_f64 v[232:233], v[224:225], s[44:45], v[230:231]
	v_add_f64 v[36:37], v[228:229], v[36:37]
	v_mul_f64 v[228:229], v[226:227], s[16:17]
	v_mul_f64 v[226:227], v[226:227], s[38:39]
	v_add_f64 v[41:42], v[232:233], v[41:42]
	v_fma_f64 v[230:231], v[4:5], s[4:5], v[228:229]
	v_fma_f64 v[228:229], v[4:5], s[4:5], -v[228:229]
	v_add_f64 v[45:46], v[230:231], v[45:46]
	v_mul_f64 v[230:231], v[6:7], s[4:5]
	v_add_f64 v[43:44], v[228:229], v[43:44]
	v_mul_f64 v[6:7], v[6:7], s[20:21]
	v_fma_f64 v[228:229], v[224:225], s[16:17], v[230:231]
	v_fma_f64 v[232:233], v[224:225], s[40:41], v[230:231]
	v_add_f64 v[47:48], v[228:229], v[47:48]
	v_fma_f64 v[228:229], v[4:5], s[20:21], v[226:227]
	v_fma_f64 v[4:5], v[4:5], s[20:21], -v[226:227]
	v_add_f64 v[49:50], v[232:233], v[49:50]
	v_add_f64 v[51:52], v[228:229], v[51:52]
	v_fma_f64 v[228:229], v[224:225], s[30:31], v[6:7]
	v_add_f64 v[0:1], v[4:5], v[0:1]
	v_fma_f64 v[4:5], v[224:225], s[38:39], v[6:7]
	v_add_f64 v[6:7], v[218:219], v[222:223]
	v_add_f64 v[218:219], v[218:219], -v[222:223]
	v_add_f64 v[53:54], v[228:229], v[53:54]
	v_add_f64 v[2:3], v[4:5], v[2:3]
	;; [unrolled: 1-line block ×3, first 2 shown]
	v_add_f64 v[216:217], v[216:217], -v[220:221]
	v_mul_f64 v[220:221], v[218:219], s[24:25]
	v_fma_f64 v[222:223], v[4:5], s[14:15], v[220:221]
	v_fma_f64 v[220:221], v[4:5], s[14:15], -v[220:221]
	v_add_f64 v[10:11], v[222:223], v[10:11]
	v_mul_f64 v[222:223], v[6:7], s[14:15]
	v_add_f64 v[8:9], v[220:221], v[8:9]
	v_fma_f64 v[220:221], v[216:217], s[24:25], v[222:223]
	v_fma_f64 v[224:225], v[216:217], s[36:37], v[222:223]
	v_add_f64 v[12:13], v[220:221], v[12:13]
	v_mul_f64 v[220:221], v[218:219], s[30:31]
	v_add_f64 v[14:15], v[224:225], v[14:15]
	v_fma_f64 v[222:223], v[4:5], s[20:21], v[220:221]
	v_fma_f64 v[220:221], v[4:5], s[20:21], -v[220:221]
	v_add_f64 v[18:19], v[222:223], v[18:19]
	v_mul_f64 v[222:223], v[6:7], s[20:21]
	v_add_f64 v[16:17], v[220:221], v[16:17]
	v_fma_f64 v[220:221], v[216:217], s[30:31], v[222:223]
	v_fma_f64 v[224:225], v[216:217], s[38:39], v[222:223]
	v_add_f64 v[20:21], v[220:221], v[20:21]
	v_mul_f64 v[220:221], v[218:219], s[18:19]
	v_add_f64 v[22:23], v[224:225], v[22:23]
	;; [unrolled: 10-line block ×3, first 2 shown]
	v_fma_f64 v[222:223], v[4:5], s[12:13], v[220:221]
	v_fma_f64 v[220:221], v[4:5], s[12:13], -v[220:221]
	v_add_f64 v[34:35], v[222:223], v[34:35]
	v_mul_f64 v[222:223], v[6:7], s[12:13]
	v_add_f64 v[32:33], v[220:221], v[32:33]
	v_fma_f64 v[220:221], v[216:217], s[28:29], v[222:223]
	v_fma_f64 v[224:225], v[216:217], s[22:23], v[222:223]
	v_add_f64 v[36:37], v[220:221], v[36:37]
	v_mul_f64 v[220:221], v[218:219], s[42:43]
	v_mul_f64 v[218:219], v[218:219], s[40:41]
	v_add_f64 v[41:42], v[224:225], v[41:42]
	v_fma_f64 v[222:223], v[4:5], s[26:27], v[220:221]
	v_fma_f64 v[220:221], v[4:5], s[26:27], -v[220:221]
	v_add_f64 v[45:46], v[222:223], v[45:46]
	v_mul_f64 v[222:223], v[6:7], s[26:27]
	v_add_f64 v[43:44], v[220:221], v[43:44]
	v_mul_f64 v[6:7], v[6:7], s[4:5]
	v_fma_f64 v[220:221], v[216:217], s[42:43], v[222:223]
	v_fma_f64 v[224:225], v[216:217], s[34:35], v[222:223]
	v_add_f64 v[47:48], v[220:221], v[47:48]
	v_fma_f64 v[220:221], v[4:5], s[4:5], v[218:219]
	v_fma_f64 v[4:5], v[4:5], s[4:5], -v[218:219]
	v_add_f64 v[49:50], v[224:225], v[49:50]
	v_add_f64 v[51:52], v[220:221], v[51:52]
	v_fma_f64 v[220:221], v[216:217], s[16:17], v[6:7]
	v_add_f64 v[0:1], v[4:5], v[0:1]
	v_fma_f64 v[4:5], v[216:217], s[40:41], v[6:7]
	v_add_f64 v[6:7], v[210:211], v[214:215]
	v_add_f64 v[210:211], v[210:211], -v[214:215]
	v_add_f64 v[53:54], v[220:221], v[53:54]
	v_add_f64 v[2:3], v[4:5], v[2:3]
	;; [unrolled: 1-line block ×3, first 2 shown]
	v_add_f64 v[208:209], v[208:209], -v[212:213]
	v_mul_f64 v[212:213], v[210:211], s[38:39]
	v_fma_f64 v[214:215], v[4:5], s[20:21], v[212:213]
	v_fma_f64 v[212:213], v[4:5], s[20:21], -v[212:213]
	v_add_f64 v[10:11], v[214:215], v[10:11]
	v_mul_f64 v[214:215], v[6:7], s[20:21]
	v_add_f64 v[8:9], v[212:213], v[8:9]
	v_fma_f64 v[212:213], v[208:209], s[38:39], v[214:215]
	v_fma_f64 v[216:217], v[208:209], s[30:31], v[214:215]
	v_add_f64 v[12:13], v[212:213], v[12:13]
	v_mul_f64 v[212:213], v[210:211], s[22:23]
	v_add_f64 v[14:15], v[216:217], v[14:15]
	v_fma_f64 v[214:215], v[4:5], s[12:13], v[212:213]
	v_fma_f64 v[212:213], v[4:5], s[12:13], -v[212:213]
	v_add_f64 v[18:19], v[214:215], v[18:19]
	v_mul_f64 v[214:215], v[6:7], s[12:13]
	v_add_f64 v[16:17], v[212:213], v[16:17]
	v_fma_f64 v[212:213], v[208:209], s[22:23], v[214:215]
	v_fma_f64 v[216:217], v[208:209], s[28:29], v[214:215]
	v_add_f64 v[20:21], v[212:213], v[20:21]
	v_mul_f64 v[212:213], v[210:211], s[16:17]
	v_add_f64 v[22:23], v[216:217], v[22:23]
	;; [unrolled: 10-line block ×4, first 2 shown]
	v_fma_f64 v[214:215], v[4:5], s[2:3], v[212:213]
	v_fma_f64 v[212:213], v[4:5], s[2:3], -v[212:213]
	v_add_f64 v[45:46], v[214:215], v[45:46]
	v_mul_f64 v[214:215], v[6:7], s[2:3]
	v_add_f64 v[236:237], v[212:213], v[43:44]
	v_mul_f64 v[6:7], v[6:7], s[14:15]
	v_fma_f64 v[43:44], v[208:209], s[18:19], v[214:215]
	v_fma_f64 v[216:217], v[208:209], s[44:45], v[214:215]
	v_add_f64 v[47:48], v[43:44], v[47:48]
	v_mul_f64 v[43:44], v[210:211], s[24:25]
	v_add_f64 v[49:50], v[216:217], v[49:50]
	v_fma_f64 v[210:211], v[4:5], s[14:15], v[43:44]
	v_fma_f64 v[4:5], v[4:5], s[14:15], -v[43:44]
	v_add_f64 v[51:52], v[210:211], v[51:52]
	v_fma_f64 v[210:211], v[208:209], s[36:37], v[6:7]
	v_add_f64 v[0:1], v[4:5], v[0:1]
	v_fma_f64 v[4:5], v[208:209], s[24:25], v[6:7]
	v_add_f64 v[6:7], v[198:199], v[202:203]
	v_add_f64 v[202:203], v[198:199], -v[202:203]
	v_add_f64 v[53:54], v[210:211], v[53:54]
	v_add_f64 v[2:3], v[4:5], v[2:3]
	;; [unrolled: 1-line block ×3, first 2 shown]
	v_mul_f64 v[43:44], v[202:203], s[34:35]
	v_add_f64 v[200:201], v[196:197], -v[200:201]
	v_fma_f64 v[196:197], v[4:5], s[26:27], v[43:44]
	v_add_f64 v[208:209], v[196:197], v[10:11]
	v_mul_f64 v[10:11], v[6:7], s[26:27]
	v_fma_f64 v[196:197], v[200:201], s[42:43], v[10:11]
	v_add_f64 v[210:211], v[196:197], v[14:15]
	v_fma_f64 v[14:15], v[4:5], s[26:27], -v[43:44]
	v_add_f64 v[196:197], v[14:15], v[8:9]
	v_fma_f64 v[8:9], v[200:201], s[34:35], v[10:11]
	v_add_f64 v[198:199], v[8:9], v[12:13]
	v_mul_f64 v[8:9], v[202:203], s[18:19]
	v_fma_f64 v[10:11], v[4:5], s[2:3], v[8:9]
	v_fma_f64 v[8:9], v[4:5], s[2:3], -v[8:9]
	v_add_f64 v[216:217], v[10:11], v[18:19]
	v_mul_f64 v[10:11], v[6:7], s[2:3]
	v_add_f64 v[212:213], v[8:9], v[16:17]
	v_add_f64 v[16:17], v[170:171], -v[182:183]
	v_fma_f64 v[8:9], v[200:201], s[18:19], v[10:11]
	v_fma_f64 v[12:13], v[200:201], s[44:45], v[10:11]
	v_add_f64 v[214:215], v[8:9], v[20:21]
	v_mul_f64 v[8:9], v[202:203], s[38:39]
	v_add_f64 v[218:219], v[12:13], v[22:23]
	v_add_f64 v[22:23], v[168:169], -v[180:181]
	v_add_f64 v[20:21], v[162:163], -v[178:179]
	v_fma_f64 v[10:11], v[4:5], s[20:21], v[8:9]
	v_fma_f64 v[8:9], v[4:5], s[20:21], -v[8:9]
	v_add_f64 v[224:225], v[10:11], v[26:27]
	v_mul_f64 v[10:11], v[6:7], s[20:21]
	v_add_f64 v[220:221], v[8:9], v[24:25]
	v_add_f64 v[26:27], v[160:161], -v[176:177]
	v_add_f64 v[24:25], v[158:159], -v[174:175]
	v_fma_f64 v[8:9], v[200:201], s[38:39], v[10:11]
	v_fma_f64 v[12:13], v[200:201], s[30:31], v[10:11]
	v_mul_f64 v[246:247], v[26:27], s[28:29]
	v_add_f64 v[222:223], v[8:9], v[28:29]
	v_mul_f64 v[8:9], v[202:203], s[40:41]
	v_add_f64 v[226:227], v[12:13], v[30:31]
	v_add_f64 v[30:31], v[156:157], -v[172:173]
	v_add_f64 v[28:29], v[154:155], -v[166:167]
	v_fma_f64 v[10:11], v[4:5], s[4:5], v[8:9]
	v_fma_f64 v[8:9], v[4:5], s[4:5], -v[8:9]
	v_mul_f64 v[250:251], v[28:29], s[38:39]
	v_add_f64 v[232:233], v[10:11], v[34:35]
	v_mul_f64 v[10:11], v[6:7], s[4:5]
	v_add_f64 v[228:229], v[8:9], v[32:33]
	v_add_f64 v[34:35], v[152:153], -v[164:165]
	v_add_f64 v[32:33], v[146:147], -v[150:151]
	v_fma_f64 v[8:9], v[200:201], s[40:41], v[10:11]
	v_fma_f64 v[12:13], v[200:201], s[16:17], v[10:11]
	v_add_f64 v[230:231], v[8:9], v[36:37]
	v_mul_f64 v[8:9], v[202:203], s[24:25]
	v_add_f64 v[234:235], v[12:13], v[41:42]
	v_add_f64 v[36:37], v[144:145], -v[148:149]
	v_fma_f64 v[10:11], v[4:5], s[14:15], v[8:9]
	v_fma_f64 v[8:9], v[4:5], s[14:15], -v[8:9]
	v_add_f64 v[41:42], v[10:11], v[45:46]
	v_mul_f64 v[10:11], v[6:7], s[14:15]
	v_add_f64 v[236:237], v[8:9], v[236:237]
	v_mul_f64 v[6:7], v[6:7], s[12:13]
	v_fma_f64 v[8:9], v[200:201], s[24:25], v[10:11]
	v_fma_f64 v[12:13], v[200:201], s[36:37], v[10:11]
	v_add_f64 v[238:239], v[8:9], v[47:48]
	v_mul_f64 v[8:9], v[202:203], s[22:23]
	v_add_f64 v[43:44], v[12:13], v[49:50]
	v_fma_f64 v[10:11], v[4:5], s[12:13], v[8:9]
	v_fma_f64 v[4:5], v[4:5], s[12:13], -v[8:9]
	v_add_f64 v[45:46], v[10:11], v[51:52]
	v_add_f64 v[49:50], v[4:5], v[0:1]
	v_fma_f64 v[0:1], v[200:201], s[22:23], v[6:7]
	v_add_f64 v[4:5], v[192:193], -v[184:185]
	v_fma_f64 v[10:11], v[200:201], s[28:29], v[6:7]
	v_add_f64 v[51:52], v[0:1], v[2:3]
	v_add_f64 v[2:3], v[190:191], v[194:195]
	;; [unrolled: 1-line block ×3, first 2 shown]
	v_mul_f64 v[6:7], v[4:5], s[44:45]
	buffer_store_dword v6, off, s[52:55], 0 offset:256 ; 4-byte Folded Spill
	s_nop 0
	buffer_store_dword v7, off, s[52:55], 0 offset:260 ; 4-byte Folded Spill
	v_add_f64 v[2:3], v[2:3], v[170:171]
	v_add_f64 v[0:1], v[0:1], v[168:169]
	;; [unrolled: 1-line block ×3, first 2 shown]
	v_mul_f64 v[168:169], v[16:17], s[16:17]
	v_add_f64 v[47:48], v[10:11], v[53:54]
	s_waitcnt vmcnt(0)
	s_barrier
	v_add_f64 v[2:3], v[2:3], v[162:163]
	v_add_f64 v[0:1], v[0:1], v[160:161]
	v_mul_f64 v[160:161], v[20:21], s[28:29]
	v_fma_f64 v[8:9], v[192:193], s[4:5], v[168:169]
	ds_write_b128 v40, v[204:207]
	ds_write_b128 v40, v[208:211] offset:16
	ds_write_b128 v40, v[216:219] offset:32
	;; [unrolled: 1-line block ×12, first 2 shown]
	v_add_f64 v[2:3], v[2:3], v[158:159]
	v_add_f64 v[0:1], v[0:1], v[156:157]
	;; [unrolled: 1-line block ×14, first 2 shown]
	v_mul_f64 v[178:179], v[24:25], s[24:25]
	v_add_f64 v[2:3], v[2:3], v[182:183]
	v_add_f64 v[0:1], v[0:1], v[180:181]
	v_fma_f64 v[6:7], v[242:243], s[2:3], -v[6:7]
	v_add_f64 v[202:203], v[2:3], v[186:187]
	v_add_f64 v[2:3], v[194:195], -v[186:187]
	v_add_f64 v[200:201], v[0:1], v[184:185]
	v_add_f64 v[194:195], v[170:171], v[182:183]
	v_mul_f64 v[170:171], v[22:23], s[16:17]
	v_add_f64 v[184:185], v[156:157], v[172:173]
	v_add_f64 v[6:7], v[190:191], v[6:7]
	v_mul_f64 v[186:187], v[2:3], s[44:45]
	v_fma_f64 v[10:11], v[184:185], s[14:15], v[178:179]
	v_fma_f64 v[0:1], v[240:241], s[2:3], v[186:187]
	v_add_f64 v[0:1], v[188:189], v[0:1]
	v_add_f64 v[0:1], v[8:9], v[0:1]
	v_fma_f64 v[8:9], v[194:195], s[4:5], -v[170:171]
	v_add_f64 v[6:7], v[8:9], v[6:7]
	v_fma_f64 v[8:9], v[244:245], s[12:13], v[160:161]
	v_add_f64 v[0:1], v[8:9], v[0:1]
	v_fma_f64 v[8:9], v[248:249], s[12:13], -v[246:247]
	v_add_f64 v[10:11], v[10:11], v[0:1]
	v_add_f64 v[8:9], v[8:9], v[6:7]
	;; [unrolled: 1-line block ×3, first 2 shown]
	v_mul_f64 v[0:1], v[30:31], s[24:25]
	v_fma_f64 v[12:13], v[6:7], s[14:15], -v[0:1]
	v_add_f64 v[14:15], v[12:13], v[8:9]
	v_add_f64 v[8:9], v[152:153], v[164:165]
	;; [unrolled: 1-line block ×3, first 2 shown]
	v_fma_f64 v[18:19], v[8:9], s[20:21], v[250:251]
	v_add_f64 v[53:54], v[18:19], v[10:11]
	v_mul_f64 v[10:11], v[34:35], s[38:39]
	v_fma_f64 v[18:19], v[12:13], s[20:21], -v[10:11]
	v_add_f64 v[152:153], v[18:19], v[14:15]
	v_add_f64 v[14:15], v[144:145], v[148:149]
	v_mul_f64 v[148:149], v[32:33], s[34:35]
	v_add_f64 v[18:19], v[146:147], v[150:151]
	v_mul_f64 v[150:151], v[36:37], s[34:35]
	v_fma_f64 v[144:145], v[14:15], s[26:27], v[148:149]
	v_add_f64 v[144:145], v[144:145], v[53:54]
	v_fma_f64 v[53:54], v[18:19], s[26:27], -v[150:151]
	v_add_f64 v[146:147], v[53:54], v[152:153]
	s_and_saveexec_b64 s[44:45], vcc
	s_cbranch_execz .LBB0_17
; %bb.16:
	v_mul_f64 v[40:41], v[240:241], s[2:3]
	v_mul_f64 v[156:157], v[4:5], s[34:35]
	;; [unrolled: 1-line block ×3, first 2 shown]
	v_mov_b32_e32 v215, v169
	v_mul_f64 v[52:53], v[26:27], s[38:39]
	v_mov_b32_e32 v214, v168
	v_mul_f64 v[168:169], v[2:3], s[34:35]
	v_mov_b32_e32 v211, v171
	buffer_store_dword v40, off, s[52:55], 0 offset:264 ; 4-byte Folded Spill
	s_nop 0
	buffer_store_dword v41, off, s[52:55], 0 offset:268 ; 4-byte Folded Spill
	v_mul_f64 v[40:41], v[192:193], s[4:5]
	v_fma_f64 v[158:159], v[242:243], s[26:27], v[156:157]
	v_fma_f64 v[154:155], v[194:195], s[2:3], v[152:153]
	v_mul_f64 v[48:49], v[30:31], s[40:41]
	v_fma_f64 v[54:55], v[248:249], s[20:21], v[52:53]
	v_mul_f64 v[164:165], v[16:17], s[18:19]
	v_mov_b32_e32 v210, v170
	v_fma_f64 v[170:171], v[240:241], s[26:27], -v[168:169]
	buffer_store_dword v40, off, s[52:55], 0 offset:272 ; 4-byte Folded Spill
	s_nop 0
	buffer_store_dword v41, off, s[52:55], 0 offset:276 ; 4-byte Folded Spill
	v_mul_f64 v[40:41], v[244:245], s[12:13]
	v_add_f64 v[158:159], v[190:191], v[158:159]
	v_mov_b32_e32 v217, v161
	v_mul_f64 v[44:45], v[34:35], s[24:25]
	v_fma_f64 v[50:51], v[6:7], s[4:5], v[48:49]
	v_mov_b32_e32 v216, v160
	v_mul_f64 v[160:161], v[20:21], s[38:39]
	v_fma_f64 v[166:167], v[192:193], s[2:3], -v[164:165]
	buffer_store_dword v40, off, s[52:55], 0 offset:280 ; 4-byte Folded Spill
	s_nop 0
	buffer_store_dword v41, off, s[52:55], 0 offset:284 ; 4-byte Folded Spill
	v_mul_f64 v[40:41], v[184:185], s[14:15]
	v_add_f64 v[154:155], v[154:155], v[158:159]
	v_add_f64 v[170:171], v[188:189], v[170:171]
	v_fma_f64 v[46:47], v[12:13], s[14:15], v[44:45]
	v_mul_f64 v[158:159], v[24:25], s[40:41]
	v_fma_f64 v[162:163], v[244:245], s[20:21], -v[160:161]
	v_fma_f64 v[44:45], v[12:13], s[14:15], -v[44:45]
	v_mul_f64 v[174:175], v[2:3], s[38:39]
	buffer_store_dword v40, off, s[52:55], 0 offset:288 ; 4-byte Folded Spill
	s_nop 0
	buffer_store_dword v41, off, s[52:55], 0 offset:292 ; 4-byte Folded Spill
	v_mul_f64 v[40:41], v[8:9], s[20:21]
	v_add_f64 v[54:55], v[54:55], v[154:155]
	v_add_f64 v[166:167], v[166:167], v[170:171]
	v_fma_f64 v[154:155], v[184:185], s[4:5], -v[158:159]
	v_mul_f64 v[170:171], v[16:17], s[22:23]
	v_mul_f64 v[238:239], v[2:3], s[24:25]
	v_fma_f64 v[232:233], v[240:241], s[20:21], -v[174:175]
	v_mul_f64 v[234:235], v[16:17], s[30:31]
	buffer_store_dword v40, off, s[52:55], 0 offset:296 ; 4-byte Folded Spill
	s_nop 0
	buffer_store_dword v41, off, s[52:55], 0 offset:300 ; 4-byte Folded Spill
	v_mul_f64 v[40:41], v[36:37], s[22:23]
	v_add_f64 v[50:51], v[50:51], v[54:55]
	v_add_f64 v[162:163], v[162:163], v[166:167]
	v_mul_f64 v[166:167], v[20:21], s[16:17]
	v_fma_f64 v[172:173], v[192:193], s[12:13], -v[170:171]
	v_add_f64 v[232:233], v[188:189], v[232:233]
	v_fma_f64 v[208:209], v[240:241], s[14:15], -v[238:239]
	v_fma_f64 v[236:237], v[192:193], s[20:21], -v[234:235]
	v_fma_f64 v[42:43], v[18:19], s[12:13], v[40:41]
	v_add_f64 v[46:47], v[46:47], v[50:51]
	v_mul_f64 v[50:51], v[28:29], s[24:25]
	v_add_f64 v[154:155], v[154:155], v[162:163]
	v_fma_f64 v[40:41], v[18:19], s[12:13], -v[40:41]
	v_mul_f64 v[162:163], v[4:5], s[38:39]
	v_add_f64 v[172:173], v[172:173], v[232:233]
	v_add_f64 v[208:209], v[188:189], v[208:209]
	v_mul_f64 v[176:177], v[2:3], s[28:29]
	v_add_f64 v[206:207], v[42:43], v[46:47]
	v_mul_f64 v[42:43], v[32:33], s[22:23]
	v_fma_f64 v[54:55], v[8:9], s[14:15], -v[50:51]
	v_mov_b32_e32 v182, v186
	v_mov_b32_e32 v183, v187
	v_mul_f64 v[186:187], v[16:17], s[34:35]
	v_add_f64 v[208:209], v[236:237], v[208:209]
	v_fma_f64 v[212:213], v[240:241], s[12:13], -v[176:177]
	v_mul_f64 v[236:237], v[20:21], s[36:37]
	v_fma_f64 v[46:47], v[14:15], s[12:13], -v[42:43]
	v_add_f64 v[54:55], v[54:55], v[154:155]
	v_mul_f64 v[230:231], v[18:19], s[26:27]
	v_mul_f64 v[224:225], v[6:7], s[14:15]
	v_fma_f64 v[180:181], v[192:193], s[26:27], -v[186:187]
	v_mul_f64 v[226:227], v[12:13], s[20:21]
	v_add_f64 v[212:213], v[188:189], v[212:213]
	v_mul_f64 v[220:221], v[14:15], s[26:27]
	v_mul_f64 v[218:219], v[242:243], s[2:3]
	v_add_f64 v[204:205], v[46:47], v[54:55]
	v_fma_f64 v[54:55], v[242:243], s[26:27], -v[156:157]
	v_fma_f64 v[46:47], v[6:7], s[4:5], -v[48:49]
	;; [unrolled: 1-line block ×4, first 2 shown]
	v_add_f64 v[180:181], v[180:181], v[212:213]
	v_mul_f64 v[228:229], v[194:195], s[4:5]
	v_mul_f64 v[222:223], v[248:249], s[12:13]
	v_add_f64 v[0:1], v[0:1], v[224:225]
	v_add_f64 v[54:55], v[190:191], v[54:55]
	;; [unrolled: 1-line block ×4, first 2 shown]
	v_mul_f64 v[52:53], v[26:27], s[16:17]
	v_add_f64 v[46:47], v[46:47], v[48:49]
	v_fma_f64 v[48:49], v[192:193], s[2:3], v[164:165]
	v_fma_f64 v[54:55], v[248:249], s[4:5], v[52:53]
	v_mul_f64 v[164:165], v[24:25], s[42:43]
	v_add_f64 v[44:45], v[44:45], v[46:47]
	v_fma_f64 v[46:47], v[244:245], s[20:21], v[160:161]
	v_mul_f64 v[160:161], v[22:23], s[22:23]
	v_add_f64 v[154:155], v[40:41], v[44:45]
	v_fma_f64 v[40:41], v[14:15], s[12:13], v[42:43]
	v_fma_f64 v[42:43], v[8:9], s[14:15], v[50:51]
	;; [unrolled: 1-line block ×6, first 2 shown]
	v_fma_f64 v[168:169], v[244:245], s[4:5], -v[166:167]
	v_add_f64 v[50:51], v[188:189], v[50:51]
	v_add_f64 v[158:159], v[190:191], v[158:159]
	;; [unrolled: 1-line block ×3, first 2 shown]
	v_mul_f64 v[172:173], v[24:25], s[28:29]
	v_add_f64 v[48:49], v[48:49], v[50:51]
	v_add_f64 v[156:157], v[156:157], v[158:159]
	;; [unrolled: 1-line block ×3, first 2 shown]
	v_mul_f64 v[48:49], v[30:31], s[42:43]
	v_add_f64 v[54:55], v[54:55], v[156:157]
	v_fma_f64 v[156:157], v[184:185], s[26:27], -v[164:165]
	v_add_f64 v[44:45], v[44:45], v[46:47]
	v_fma_f64 v[50:51], v[6:7], s[26:27], v[48:49]
	v_add_f64 v[156:157], v[156:157], v[168:169]
	v_mul_f64 v[168:169], v[22:23], s[30:31]
	v_add_f64 v[42:43], v[42:43], v[44:45]
	v_mul_f64 v[44:45], v[34:35], s[18:19]
	v_add_f64 v[50:51], v[50:51], v[54:55]
	v_add_f64 v[152:153], v[40:41], v[42:43]
	v_mul_f64 v[40:41], v[36:37], s[24:25]
	v_fma_f64 v[46:47], v[12:13], s[2:3], v[44:45]
	v_fma_f64 v[44:45], v[12:13], s[2:3], -v[44:45]
	v_fma_f64 v[42:43], v[18:19], s[14:15], v[40:41]
	v_add_f64 v[46:47], v[46:47], v[50:51]
	v_mul_f64 v[50:51], v[28:29], s[18:19]
	v_fma_f64 v[40:41], v[18:19], s[14:15], -v[40:41]
	v_add_f64 v[158:159], v[42:43], v[46:47]
	v_mul_f64 v[42:43], v[32:33], s[24:25]
	v_fma_f64 v[54:55], v[8:9], s[2:3], -v[50:51]
	v_fma_f64 v[46:47], v[14:15], s[14:15], -v[42:43]
	v_add_f64 v[54:55], v[54:55], v[156:157]
	v_add_f64 v[156:157], v[46:47], v[54:55]
	v_fma_f64 v[54:55], v[242:243], s[20:21], -v[162:163]
	v_fma_f64 v[46:47], v[6:7], s[26:27], -v[48:49]
	;; [unrolled: 1-line block ×4, first 2 shown]
	v_add_f64 v[54:55], v[190:191], v[54:55]
	v_add_f64 v[52:53], v[52:53], v[54:55]
	;; [unrolled: 1-line block ×3, first 2 shown]
	v_mul_f64 v[52:53], v[26:27], s[18:19]
	v_add_f64 v[46:47], v[46:47], v[48:49]
	v_fma_f64 v[48:49], v[192:193], s[12:13], v[170:171]
	v_mul_f64 v[170:171], v[4:5], s[24:25]
	v_fma_f64 v[54:55], v[248:249], s[2:3], v[52:53]
	v_add_f64 v[44:45], v[44:45], v[46:47]
	v_fma_f64 v[46:47], v[244:245], s[4:5], v[166:167]
	v_fma_f64 v[166:167], v[242:243], s[14:15], v[170:171]
	v_add_f64 v[162:163], v[40:41], v[44:45]
	v_fma_f64 v[40:41], v[14:15], s[14:15], v[42:43]
	v_fma_f64 v[42:43], v[8:9], s[2:3], v[50:51]
	;; [unrolled: 1-line block ×5, first 2 shown]
	v_add_f64 v[166:167], v[190:191], v[166:167]
	v_mul_f64 v[174:175], v[20:21], s[18:19]
	v_mul_f64 v[20:21], v[20:21], s[34:35]
	v_add_f64 v[50:51], v[188:189], v[50:51]
	v_add_f64 v[164:165], v[164:165], v[166:167]
	v_fma_f64 v[232:233], v[244:245], s[2:3], -v[174:175]
	v_add_f64 v[48:49], v[48:49], v[50:51]
	v_add_f64 v[54:55], v[54:55], v[164:165]
	v_fma_f64 v[164:165], v[184:185], s[12:13], -v[172:173]
	v_add_f64 v[208:209], v[232:233], v[208:209]
	v_mul_f64 v[232:233], v[4:5], s[28:29]
	v_add_f64 v[46:47], v[46:47], v[48:49]
	v_mul_f64 v[48:49], v[30:31], s[28:29]
	;; [unrolled: 2-line block ×3, first 2 shown]
	v_mul_f64 v[22:23], v[22:23], s[24:25]
	v_add_f64 v[44:45], v[44:45], v[46:47]
	v_fma_f64 v[50:51], v[6:7], s[12:13], v[48:49]
	v_add_f64 v[42:43], v[42:43], v[44:45]
	v_mul_f64 v[44:45], v[34:35], s[42:43]
	v_add_f64 v[50:51], v[50:51], v[54:55]
	v_add_f64 v[160:161], v[40:41], v[42:43]
	v_mul_f64 v[40:41], v[36:37], s[40:41]
	v_fma_f64 v[46:47], v[12:13], s[26:27], v[44:45]
	v_fma_f64 v[44:45], v[12:13], s[26:27], -v[44:45]
	v_fma_f64 v[42:43], v[18:19], s[4:5], v[40:41]
	v_add_f64 v[46:47], v[46:47], v[50:51]
	v_mul_f64 v[50:51], v[28:29], s[42:43]
	v_fma_f64 v[40:41], v[18:19], s[4:5], -v[40:41]
	v_add_f64 v[166:167], v[42:43], v[46:47]
	v_mul_f64 v[42:43], v[32:33], s[40:41]
	v_fma_f64 v[54:55], v[8:9], s[26:27], -v[50:51]
	v_fma_f64 v[46:47], v[14:15], s[4:5], -v[42:43]
	v_add_f64 v[54:55], v[54:55], v[164:165]
	v_add_f64 v[164:165], v[46:47], v[54:55]
	v_fma_f64 v[54:55], v[242:243], s[14:15], -v[170:171]
	v_fma_f64 v[46:47], v[6:7], s[12:13], -v[48:49]
	;; [unrolled: 1-line block ×4, first 2 shown]
	v_add_f64 v[54:55], v[190:191], v[54:55]
	v_add_f64 v[52:53], v[52:53], v[54:55]
	;; [unrolled: 1-line block ×3, first 2 shown]
	v_mul_f64 v[52:53], v[26:27], s[36:37]
	v_mul_f64 v[26:27], v[26:27], s[34:35]
	v_add_f64 v[46:47], v[46:47], v[48:49]
	v_fma_f64 v[48:49], v[192:193], s[20:21], v[234:235]
	v_fma_f64 v[54:55], v[248:249], s[14:15], v[52:53]
	v_mul_f64 v[234:235], v[24:25], s[18:19]
	v_mul_f64 v[24:25], v[24:25], s[30:31]
	v_add_f64 v[44:45], v[44:45], v[46:47]
	v_fma_f64 v[46:47], v[244:245], s[2:3], v[174:175]
	v_fma_f64 v[174:175], v[242:243], s[12:13], v[232:233]
	v_add_f64 v[170:171], v[40:41], v[44:45]
	v_fma_f64 v[40:41], v[14:15], s[4:5], v[42:43]
	v_fma_f64 v[42:43], v[8:9], s[26:27], v[50:51]
	;; [unrolled: 1-line block ×5, first 2 shown]
	v_add_f64 v[174:175], v[190:191], v[174:175]
	v_fma_f64 v[238:239], v[244:245], s[14:15], -v[236:237]
	v_add_f64 v[50:51], v[188:189], v[50:51]
	v_add_f64 v[172:173], v[172:173], v[174:175]
	;; [unrolled: 1-line block ×5, first 2 shown]
	v_fma_f64 v[172:173], v[184:185], s[2:3], -v[234:235]
	v_add_f64 v[46:47], v[46:47], v[48:49]
	v_mul_f64 v[48:49], v[30:31], s[18:19]
	v_mul_f64 v[30:31], v[30:31], s[30:31]
	v_add_f64 v[172:173], v[172:173], v[180:181]
	v_add_f64 v[44:45], v[44:45], v[46:47]
	v_fma_f64 v[50:51], v[6:7], s[2:3], v[48:49]
	v_add_f64 v[42:43], v[42:43], v[44:45]
	v_mul_f64 v[44:45], v[34:35], s[16:17]
	v_add_f64 v[50:51], v[50:51], v[54:55]
	v_mul_f64 v[34:35], v[34:35], s[22:23]
	;; [unrolled: 2-line block ×3, first 2 shown]
	v_fma_f64 v[46:47], v[12:13], s[4:5], v[44:45]
	v_mul_f64 v[36:37], v[36:37], s[18:19]
	v_fma_f64 v[42:43], v[18:19], s[20:21], v[40:41]
	v_add_f64 v[46:47], v[46:47], v[50:51]
	v_mul_f64 v[50:51], v[28:29], s[16:17]
	v_fma_f64 v[40:41], v[18:19], s[20:21], -v[40:41]
	v_mul_f64 v[28:29], v[28:29], s[22:23]
	v_add_f64 v[174:175], v[42:43], v[46:47]
	v_mul_f64 v[46:47], v[32:33], s[38:39]
	v_fma_f64 v[54:55], v[8:9], s[4:5], -v[50:51]
	v_mul_f64 v[32:33], v[32:33], s[18:19]
	v_fma_f64 v[42:43], v[14:15], s[20:21], -v[46:47]
	v_add_f64 v[54:55], v[54:55], v[172:173]
	v_add_f64 v[172:173], v[42:43], v[54:55]
	v_fma_f64 v[54:55], v[242:243], s[12:13], -v[232:233]
	v_fma_f64 v[42:43], v[12:13], s[4:5], -v[44:45]
	;; [unrolled: 1-line block ×5, first 2 shown]
	v_add_f64 v[54:55], v[190:191], v[54:55]
	v_add_f64 v[52:53], v[52:53], v[54:55]
	v_mul_f64 v[54:55], v[4:5], s[16:17]
	v_add_f64 v[48:49], v[48:49], v[52:53]
	v_fma_f64 v[52:53], v[240:241], s[12:13], v[176:177]
	v_fma_f64 v[4:5], v[242:243], s[4:5], v[54:55]
	v_mul_f64 v[176:177], v[2:3], s[16:17]
	v_add_f64 v[44:45], v[44:45], v[48:49]
	v_add_f64 v[52:53], v[188:189], v[52:53]
	v_fma_f64 v[48:49], v[244:245], s[14:15], v[236:237]
	v_add_f64 v[4:5], v[190:191], v[4:5]
	v_fma_f64 v[2:3], v[240:241], s[4:5], -v[176:177]
	v_add_f64 v[42:43], v[42:43], v[44:45]
	v_fma_f64 v[44:45], v[8:9], s[4:5], v[50:51]
	v_fma_f64 v[50:51], v[192:193], s[26:27], v[186:187]
	v_add_f64 v[2:3], v[188:189], v[2:3]
	v_add_f64 v[42:43], v[40:41], v[42:43]
	v_fma_f64 v[40:41], v[14:15], s[20:21], v[46:47]
	v_add_f64 v[50:51], v[50:51], v[52:53]
	v_fma_f64 v[46:47], v[184:185], s[2:3], v[234:235]
	v_fma_f64 v[52:53], v[194:195], s[14:15], v[22:23]
	v_fma_f64 v[22:23], v[194:195], s[14:15], -v[22:23]
	v_add_f64 v[48:49], v[48:49], v[50:51]
	v_fma_f64 v[50:51], v[248:249], s[26:27], v[26:27]
	v_add_f64 v[4:5], v[52:53], v[4:5]
	v_mul_f64 v[52:53], v[16:17], s[24:25]
	v_add_f64 v[46:47], v[46:47], v[48:49]
	v_fma_f64 v[48:49], v[6:7], s[20:21], v[30:31]
	v_add_f64 v[4:5], v[50:51], v[4:5]
	v_fma_f64 v[16:17], v[192:193], s[14:15], -v[52:53]
	v_fma_f64 v[6:7], v[6:7], s[20:21], -v[30:31]
	v_fma_f64 v[50:51], v[244:245], s[26:27], -v[20:21]
	v_add_f64 v[44:45], v[44:45], v[46:47]
	v_fma_f64 v[46:47], v[12:13], s[12:13], v[34:35]
	v_add_f64 v[4:5], v[48:49], v[4:5]
	v_add_f64 v[2:3], v[16:17], v[2:3]
	v_fma_f64 v[16:17], v[18:19], s[2:3], -v[36:37]
	v_fma_f64 v[12:13], v[12:13], s[12:13], -v[34:35]
	;; [unrolled: 1-line block ×3, first 2 shown]
	v_add_f64 v[40:41], v[40:41], v[44:45]
	v_fma_f64 v[44:45], v[18:19], s[2:3], v[36:37]
	v_fma_f64 v[18:19], v[248:249], s[26:27], -v[26:27]
	v_fma_f64 v[26:27], v[242:243], s[4:5], -v[54:55]
	v_add_f64 v[4:5], v[46:47], v[4:5]
	v_fma_f64 v[46:47], v[8:9], s[12:13], -v[28:29]
	v_fma_f64 v[8:9], v[8:9], s[12:13], v[28:29]
	v_add_f64 v[2:3], v[50:51], v[2:3]
	v_add_f64 v[26:27], v[190:191], v[26:27]
	;; [unrolled: 1-line block ×3, first 2 shown]
	v_fma_f64 v[44:45], v[14:15], s[2:3], -v[32:33]
	v_add_f64 v[2:3], v[48:49], v[2:3]
	v_add_f64 v[22:23], v[22:23], v[26:27]
	;; [unrolled: 1-line block ×6, first 2 shown]
	v_fma_f64 v[18:19], v[192:193], s[14:15], v[52:53]
	v_add_f64 v[6:7], v[12:13], v[6:7]
	v_fma_f64 v[12:13], v[184:185], s[20:21], v[24:25]
	v_add_f64 v[16:17], v[16:17], v[6:7]
	v_fma_f64 v[6:7], v[14:15], s[2:3], v[32:33]
	v_fma_f64 v[14:15], v[244:245], s[26:27], v[20:21]
	;; [unrolled: 1-line block ×3, first 2 shown]
	v_add_f64 v[20:21], v[188:189], v[20:21]
	v_add_f64 v[18:19], v[18:19], v[20:21]
	;; [unrolled: 1-line block ×3, first 2 shown]
	buffer_load_dword v18, off, s[52:55], 0 offset:256 ; 4-byte Folded Reload
	buffer_load_dword v19, off, s[52:55], 0 offset:260 ; 4-byte Folded Reload
	v_add_f64 v[12:13], v[12:13], v[14:15]
	v_add_f64 v[8:9], v[8:9], v[12:13]
	;; [unrolled: 1-line block ×7, first 2 shown]
	s_waitcnt vmcnt(0)
	v_add_f64 v[18:19], v[18:19], v[218:219]
	v_add_f64 v[18:19], v[190:191], v[18:19]
	;; [unrolled: 1-line block ×7, first 2 shown]
	buffer_load_dword v6, off, s[52:55], 0 offset:296 ; 4-byte Folded Reload
	buffer_load_dword v7, off, s[52:55], 0 offset:300 ; 4-byte Folded Reload
	buffer_load_dword v10, off, s[52:55], 0 offset:288 ; 4-byte Folded Reload
	buffer_load_dword v11, off, s[52:55], 0 offset:292 ; 4-byte Folded Reload
	buffer_load_dword v12, off, s[52:55], 0 offset:280 ; 4-byte Folded Reload
	buffer_load_dword v13, off, s[52:55], 0 offset:284 ; 4-byte Folded Reload
	buffer_load_dword v18, off, s[52:55], 0 offset:272 ; 4-byte Folded Reload
	buffer_load_dword v19, off, s[52:55], 0 offset:276 ; 4-byte Folded Reload
	buffer_load_dword v20, off, s[52:55], 0 offset:264 ; 4-byte Folded Reload
	buffer_load_dword v21, off, s[52:55], 0 offset:268 ; 4-byte Folded Reload
	v_add_f64 v[0:1], v[220:221], -v[148:149]
	s_waitcnt vmcnt(8)
	v_add_f64 v[6:7], v[6:7], -v[250:251]
	s_waitcnt vmcnt(6)
	;; [unrolled: 2-line block ×5, first 2 shown]
	v_add_f64 v[20:21], v[20:21], -v[182:183]
	v_add_f64 v[20:21], v[188:189], v[20:21]
	v_add_f64 v[18:19], v[18:19], v[20:21]
	;; [unrolled: 1-line block ×6, first 2 shown]
	buffer_load_dword v0, off, s[52:55], 0 offset:208 ; 4-byte Folded Reload
	buffer_load_dword v1, off, s[52:55], 0 offset:252 ; 4-byte Folded Reload
	s_waitcnt vmcnt(0)
	v_lshl_add_u32 v0, v1, 4, v0
	ds_write_b128 v0, v[200:203]
	ds_write_b128 v0, v[144:147] offset:16
	ds_write_b128 v0, v[14:17] offset:32
	;; [unrolled: 1-line block ×12, first 2 shown]
.LBB0_17:
	s_or_b64 exec, exec, s[44:45]
	s_waitcnt lgkmcnt(0)
	s_barrier
	ds_read_b128 v[160:163], v38
	ds_read_b128 v[156:159], v38 offset:624
	ds_read_b128 v[192:195], v38 offset:2912
	ds_read_b128 v[184:187], v38 offset:3536
	ds_read_b128 v[188:191], v38 offset:5824
	ds_read_b128 v[176:179], v38 offset:6448
	ds_read_b128 v[152:155], v38 offset:1248
	ds_read_b128 v[148:151], v38 offset:1872
	ds_read_b128 v[180:183], v38 offset:4160
	ds_read_b128 v[168:171], v38 offset:4784
	ds_read_b128 v[172:175], v38 offset:7072
	ds_read_b128 v[164:167], v38 offset:7696
	s_and_saveexec_b64 s[2:3], s[0:1]
	s_cbranch_execz .LBB0_19
; %bb.18:
	ds_read_b128 v[196:199], v38 offset:2496
	ds_read_b128 v[200:203], v38 offset:5408
	;; [unrolled: 1-line block ×3, first 2 shown]
.LBB0_19:
	s_or_b64 exec, exec, s[2:3]
	s_waitcnt lgkmcnt(9)
	v_mul_f64 v[2:3], v[66:67], v[194:195]
	s_waitcnt lgkmcnt(7)
	v_mul_f64 v[6:7], v[62:63], v[190:191]
	v_mul_f64 v[4:5], v[66:67], v[192:193]
	;; [unrolled: 1-line block ×4, first 2 shown]
	s_waitcnt lgkmcnt(3)
	v_mul_f64 v[20:21], v[86:87], v[180:181]
	v_mul_f64 v[18:19], v[86:87], v[182:183]
	;; [unrolled: 1-line block ×3, first 2 shown]
	v_fma_f64 v[12:13], v[64:65], v[192:193], v[2:3]
	v_mul_f64 v[2:3], v[74:75], v[184:185]
	v_fma_f64 v[16:17], v[60:61], v[188:189], v[6:7]
	v_mul_f64 v[6:7], v[70:71], v[176:177]
	v_fma_f64 v[4:5], v[64:65], v[194:195], -v[4:5]
	v_fma_f64 v[8:9], v[60:61], v[190:191], -v[8:9]
	v_fma_f64 v[22:23], v[72:73], v[184:185], v[10:11]
	v_fma_f64 v[32:33], v[84:85], v[182:183], -v[20:21]
	s_waitcnt lgkmcnt(2)
	v_mul_f64 v[10:11], v[94:95], v[170:171]
	v_fma_f64 v[24:25], v[72:73], v[186:187], -v[2:3]
	s_waitcnt lgkmcnt(1)
	v_mul_f64 v[2:3], v[78:79], v[174:175]
	v_fma_f64 v[26:27], v[68:69], v[178:179], -v[6:7]
	v_mul_f64 v[6:7], v[78:79], v[172:173]
	v_add_f64 v[20:21], v[12:13], v[16:17]
	v_fma_f64 v[28:29], v[84:85], v[180:181], v[18:19]
	v_mul_f64 v[18:19], v[94:95], v[168:169]
	v_fma_f64 v[42:43], v[92:93], v[168:169], v[10:11]
	v_fma_f64 v[14:15], v[68:69], v[176:177], v[14:15]
	;; [unrolled: 1-line block ×3, first 2 shown]
	s_waitcnt lgkmcnt(0)
	v_mul_f64 v[2:3], v[90:91], v[166:167]
	v_fma_f64 v[40:41], v[76:77], v[174:175], -v[6:7]
	v_add_f64 v[6:7], v[160:161], v[12:13]
	v_fma_f64 v[10:11], v[20:21], -0.5, v[160:161]
	v_add_f64 v[20:21], v[4:5], v[8:9]
	v_mul_f64 v[30:31], v[90:91], v[164:165]
	v_fma_f64 v[44:45], v[92:93], v[170:171], -v[18:19]
	v_add_f64 v[18:19], v[4:5], -v[8:9]
	v_fma_f64 v[46:47], v[88:89], v[164:165], v[2:3]
	v_add_f64 v[4:5], v[162:163], v[4:5]
	v_add_f64 v[2:3], v[6:7], v[16:17]
	v_add_f64 v[12:13], v[12:13], -v[16:17]
	v_fma_f64 v[20:21], v[20:21], -0.5, v[162:163]
	v_add_f64 v[16:17], v[24:25], v[26:27]
	s_mov_b32 s2, 0xe8584caa
	s_mov_b32 s3, 0xbfebb67a
	;; [unrolled: 1-line block ×4, first 2 shown]
	v_fma_f64 v[50:51], v[88:89], v[166:167], -v[30:31]
	v_add_f64 v[30:31], v[22:23], v[14:15]
	v_add_f64 v[4:5], v[4:5], v[8:9]
	v_add_f64 v[34:35], v[24:25], -v[26:27]
	v_fma_f64 v[8:9], v[12:13], s[4:5], v[20:21]
	v_add_f64 v[48:49], v[28:29], v[36:37]
	v_fma_f64 v[12:13], v[12:13], s[2:3], v[20:21]
	v_add_f64 v[20:21], v[158:159], v[24:25]
	v_fma_f64 v[24:25], v[16:17], -0.5, v[158:159]
	v_add_f64 v[52:53], v[22:23], -v[14:15]
	v_fma_f64 v[6:7], v[18:19], s[2:3], v[10:11]
	v_fma_f64 v[10:11], v[18:19], s[4:5], v[10:11]
	v_add_f64 v[18:19], v[156:157], v[22:23]
	v_fma_f64 v[30:31], v[30:31], -0.5, v[156:157]
	v_add_f64 v[54:55], v[152:153], v[28:29]
	v_fma_f64 v[48:49], v[48:49], -0.5, v[152:153]
	v_add_f64 v[60:61], v[32:33], -v[40:41]
	v_add_f64 v[16:17], v[20:21], v[26:27]
	v_fma_f64 v[20:21], v[52:53], s[4:5], v[24:25]
	v_add_f64 v[62:63], v[32:33], v[40:41]
	v_fma_f64 v[24:25], v[52:53], s[2:3], v[24:25]
	v_add_f64 v[52:53], v[42:43], v[46:47]
	v_add_f64 v[14:15], v[18:19], v[14:15]
	v_fma_f64 v[18:19], v[34:35], s[2:3], v[30:31]
	v_fma_f64 v[22:23], v[34:35], s[4:5], v[30:31]
	v_add_f64 v[26:27], v[54:55], v[36:37]
	v_fma_f64 v[30:31], v[60:61], s[2:3], v[48:49]
	v_fma_f64 v[34:35], v[60:61], s[4:5], v[48:49]
	v_add_f64 v[48:49], v[44:45], v[50:51]
	v_fma_f64 v[54:55], v[62:63], -0.5, v[154:155]
	v_fma_f64 v[52:53], v[52:53], -0.5, v[148:149]
	v_add_f64 v[62:63], v[44:45], -v[50:51]
	v_add_f64 v[64:65], v[150:151], v[44:45]
	s_barrier
	v_fma_f64 v[66:67], v[48:49], -0.5, v[150:151]
	v_add_f64 v[32:33], v[154:155], v[32:33]
	v_add_f64 v[36:37], v[28:29], -v[36:37]
	v_fma_f64 v[44:45], v[62:63], s[2:3], v[52:53]
	v_fma_f64 v[48:49], v[62:63], s[4:5], v[52:53]
	buffer_load_dword v52, off, s[52:55], 0 offset:220 ; 4-byte Folded Reload
	v_add_f64 v[60:61], v[148:149], v[42:43]
	v_add_f64 v[68:69], v[42:43], -v[46:47]
	v_add_f64 v[42:43], v[64:65], v[50:51]
	v_add_f64 v[28:29], v[32:33], v[40:41]
	v_fma_f64 v[32:33], v[36:37], s[4:5], v[54:55]
	v_fma_f64 v[36:37], v[36:37], s[2:3], v[54:55]
	v_add_u32_e32 v1, 0xc30, v38
	v_add_u32_e32 v0, 0xea0, v38
	v_add_f64 v[40:41], v[60:61], v[46:47]
	v_fma_f64 v[46:47], v[68:69], s[4:5], v[66:67]
	v_fma_f64 v[50:51], v[68:69], s[2:3], v[66:67]
	s_waitcnt vmcnt(0)
	ds_write_b128 v52, v[2:5]
	ds_write_b128 v52, v[6:9] offset:208
	ds_write_b128 v52, v[10:13] offset:416
	buffer_load_dword v2, off, s[52:55], 0 offset:224 ; 4-byte Folded Reload
	s_waitcnt vmcnt(0)
	ds_write_b128 v2, v[14:17]
	ds_write_b128 v2, v[18:21] offset:208
	ds_write_b128 v2, v[22:25] offset:416
	buffer_load_dword v2, off, s[52:55], 0 offset:228 ; 4-byte Folded Reload
	;; [unrolled: 5-line block ×3, first 2 shown]
	s_waitcnt vmcnt(0)
	ds_write_b128 v2, v[40:43]
	ds_write_b128 v2, v[44:47] offset:208
	ds_write_b128 v2, v[48:51] offset:416
	s_and_saveexec_b64 s[12:13], s[0:1]
	s_cbranch_execz .LBB0_21
; %bb.20:
	buffer_load_dword v10, off, s[52:55], 0 offset:236 ; 4-byte Folded Reload
	buffer_load_dword v11, off, s[52:55], 0 offset:240 ; 4-byte Folded Reload
	;; [unrolled: 1-line block ×4, first 2 shown]
	v_mul_f64 v[2:3], v[58:59], v[200:201]
	v_mul_f64 v[6:7], v[58:59], v[202:203]
	v_fma_f64 v[2:3], v[56:57], v[202:203], -v[2:3]
	v_fma_f64 v[6:7], v[56:57], v[200:201], v[6:7]
	v_add_f64 v[16:17], v[198:199], v[2:3]
	s_waitcnt vmcnt(0)
	v_mul_f64 v[4:5], v[12:13], v[144:145]
	v_mul_f64 v[8:9], v[12:13], v[146:147]
	v_fma_f64 v[4:5], v[10:11], v[146:147], -v[4:5]
	v_fma_f64 v[8:9], v[10:11], v[144:145], v[8:9]
	v_add_f64 v[10:11], v[2:3], v[4:5]
	v_add_f64 v[12:13], v[6:7], v[8:9]
	v_add_f64 v[14:15], v[6:7], -v[8:9]
	v_add_f64 v[6:7], v[196:197], v[6:7]
	v_add_f64 v[18:19], v[2:3], -v[4:5]
	v_add_f64 v[4:5], v[16:17], v[4:5]
	v_fma_f64 v[10:11], v[10:11], -0.5, v[198:199]
	v_fma_f64 v[20:21], v[12:13], -0.5, v[196:197]
	v_add_f64 v[2:3], v[6:7], v[8:9]
	v_fma_f64 v[8:9], v[14:15], s[2:3], v[10:11]
	v_fma_f64 v[12:13], v[14:15], s[4:5], v[10:11]
	buffer_load_dword v14, off, s[52:55], 0 offset:212 ; 4-byte Folded Reload
	buffer_load_dword v15, off, s[52:55], 0 offset:216 ; 4-byte Folded Reload
	v_fma_f64 v[10:11], v[18:19], s[2:3], v[20:21]
	v_fma_f64 v[6:7], v[18:19], s[4:5], v[20:21]
	s_waitcnt vmcnt(0)
	v_add_u32_sdwa v14, v15, v14 dst_sel:DWORD dst_unused:UNUSED_PAD src0_sel:DWORD src1_sel:BYTE_0
	buffer_load_dword v15, off, s[52:55], 0 offset:208 ; 4-byte Folded Reload
	s_waitcnt vmcnt(0)
	v_lshl_add_u32 v14, v14, 4, v15
	ds_write_b128 v14, v[2:5]
	ds_write_b128 v14, v[10:13] offset:208
	ds_write_b128 v14, v[6:9] offset:416
.LBB0_21:
	s_or_b64 exec, exec, s[12:13]
	s_waitcnt lgkmcnt(0)
	s_barrier
	ds_read_b128 v[2:5], v38
	ds_read_b128 v[6:9], v38 offset:624
	ds_read_b128 v[10:13], v38 offset:1248
	;; [unrolled: 1-line block ×11, first 2 shown]
	s_waitcnt lgkmcnt(9)
	v_mul_f64 v[60:61], v[110:111], v[12:13]
	v_mul_f64 v[62:63], v[110:111], v[10:11]
	s_waitcnt lgkmcnt(7)
	v_mul_f64 v[64:65], v[106:107], v[20:21]
	v_mul_f64 v[66:67], v[106:107], v[18:19]
	;; [unrolled: 3-line block ×3, first 2 shown]
	ds_read_b128 v[52:55], v38 offset:7488
	ds_read_b128 v[56:59], v38 offset:8112
	v_mul_f64 v[72:73], v[110:111], v[16:17]
	v_fma_f64 v[10:11], v[108:109], v[10:11], v[60:61]
	v_fma_f64 v[12:13], v[108:109], v[12:13], -v[62:63]
	v_fma_f64 v[18:19], v[104:105], v[18:19], v[64:65]
	v_fma_f64 v[20:21], v[104:105], v[20:21], -v[66:67]
	;; [unrolled: 2-line block ×3, first 2 shown]
	s_waitcnt lgkmcnt(5)
	v_mul_f64 v[60:61], v[98:99], v[36:37]
	v_mul_f64 v[62:63], v[98:99], v[34:35]
	s_waitcnt lgkmcnt(3)
	v_mul_f64 v[64:65], v[114:115], v[46:47]
	v_mul_f64 v[66:67], v[114:115], v[44:45]
	;; [unrolled: 3-line block ×3, first 2 shown]
	v_mul_f64 v[74:75], v[110:111], v[14:15]
	s_mov_b32 s2, 0x37e14327
	v_fma_f64 v[34:35], v[96:97], v[34:35], v[60:61]
	v_fma_f64 v[36:37], v[96:97], v[36:37], -v[62:63]
	v_fma_f64 v[44:45], v[112:113], v[44:45], v[64:65]
	v_fma_f64 v[46:47], v[112:113], v[46:47], -v[66:67]
	;; [unrolled: 2-line block ×4, first 2 shown]
	v_mul_f64 v[14:15], v[106:107], v[24:25]
	v_mul_f64 v[16:17], v[106:107], v[22:23]
	;; [unrolled: 1-line block ×8, first 2 shown]
	v_fma_f64 v[76:77], v[104:105], v[22:23], v[14:15]
	v_fma_f64 v[78:79], v[104:105], v[24:25], -v[16:17]
	v_add_f64 v[22:23], v[10:11], v[52:53]
	v_add_f64 v[24:25], v[12:13], v[54:55]
	v_add_f64 v[10:11], v[10:11], -v[52:53]
	v_add_f64 v[12:13], v[12:13], -v[54:55]
	v_add_f64 v[52:53], v[18:19], v[44:45]
	v_add_f64 v[54:55], v[20:21], v[46:47]
	v_add_f64 v[18:19], v[18:19], -v[44:45]
	v_add_f64 v[20:21], v[20:21], -v[46:47]
	;; [unrolled: 4-line block ×3, first 2 shown]
	v_add_f64 v[34:35], v[52:53], v[22:23]
	v_add_f64 v[36:37], v[54:55], v[24:25]
	v_fma_f64 v[30:31], v[100:101], v[30:31], v[64:65]
	v_fma_f64 v[32:33], v[100:101], v[32:33], -v[66:67]
	v_fma_f64 v[40:41], v[96:97], v[40:41], v[68:69]
	v_fma_f64 v[42:43], v[96:97], v[42:43], -v[70:71]
	;; [unrolled: 2-line block ×3, first 2 shown]
	v_add_f64 v[64:65], v[52:53], -v[22:23]
	v_add_f64 v[66:67], v[54:55], -v[24:25]
	;; [unrolled: 1-line block ×6, first 2 shown]
	v_add_f64 v[68:69], v[26:27], v[18:19]
	v_add_f64 v[70:71], v[28:29], v[20:21]
	v_add_f64 v[72:73], v[26:27], -v[18:19]
	v_add_f64 v[74:75], v[28:29], -v[20:21]
	v_add_f64 v[34:35], v[44:45], v[34:35]
	v_add_f64 v[36:37], v[46:47], v[36:37]
	v_add_f64 v[18:19], v[18:19], -v[10:11]
	v_add_f64 v[20:21], v[20:21], -v[12:13]
	s_mov_b32 s0, 0x36b3c0b5
	s_mov_b32 s12, 0xe976ee23
	;; [unrolled: 1-line block ×7, first 2 shown]
	v_add_f64 v[26:27], v[10:11], -v[26:27]
	v_add_f64 v[28:29], v[12:13], -v[28:29]
	v_add_f64 v[10:11], v[68:69], v[10:11]
	v_add_f64 v[12:13], v[70:71], v[12:13]
	;; [unrolled: 1-line block ×4, first 2 shown]
	v_mul_f64 v[22:23], v[22:23], s[2:3]
	v_mul_f64 v[24:25], v[24:25], s[2:3]
	v_mul_f64 v[44:45], v[52:53], s[0:1]
	v_mul_f64 v[46:47], v[54:55], s[0:1]
	v_mul_f64 v[68:69], v[72:73], s[12:13]
	v_mul_f64 v[70:71], v[74:75], s[12:13]
	v_mul_f64 v[72:73], v[18:19], s[4:5]
	v_mul_f64 v[74:75], v[20:21], s[4:5]
	s_mov_b32 s14, 0xaaaaaaaa
	s_mov_b32 s16, 0x5476071b
	;; [unrolled: 1-line block ×10, first 2 shown]
	s_waitcnt lgkmcnt(0)
	v_mul_f64 v[14:15], v[82:83], v[58:59]
	v_mul_f64 v[16:17], v[82:83], v[56:57]
	v_fma_f64 v[34:35], v[34:35], s[14:15], v[2:3]
	v_fma_f64 v[36:37], v[36:37], s[14:15], v[4:5]
	;; [unrolled: 1-line block ×4, first 2 shown]
	v_fma_f64 v[44:45], v[64:65], s[16:17], -v[44:45]
	v_fma_f64 v[46:47], v[66:67], s[16:17], -v[46:47]
	;; [unrolled: 1-line block ×4, first 2 shown]
	v_fma_f64 v[64:65], v[26:27], s[20:21], v[68:69]
	v_fma_f64 v[66:67], v[28:29], s[20:21], v[70:71]
	v_fma_f64 v[18:19], v[18:19], s[4:5], -v[68:69]
	v_fma_f64 v[20:21], v[20:21], s[4:5], -v[70:71]
	v_fma_f64 v[26:27], v[26:27], s[24:25], -v[72:73]
	v_fma_f64 v[28:29], v[28:29], s[24:25], -v[74:75]
	s_mov_b32 s22, 0x37c3f68c
	s_mov_b32 s23, 0xbfdc38aa
	v_add_f64 v[52:53], v[52:53], v[34:35]
	v_add_f64 v[54:55], v[54:55], v[36:37]
	;; [unrolled: 1-line block ×6, first 2 shown]
	v_fma_f64 v[28:29], v[12:13], s[22:23], v[28:29]
	v_fma_f64 v[68:69], v[10:11], s[22:23], v[26:27]
	;; [unrolled: 1-line block ×5, first 2 shown]
	v_fma_f64 v[58:59], v[80:81], v[58:59], -v[16:17]
	v_fma_f64 v[66:67], v[12:13], s[22:23], v[66:67]
	v_fma_f64 v[64:65], v[10:11], s[22:23], v[64:65]
	v_add_f64 v[14:15], v[28:29], v[34:35]
	v_add_f64 v[16:17], v[36:37], -v[68:69]
	v_add_f64 v[18:19], v[44:45], -v[22:23]
	v_add_f64 v[20:21], v[24:25], v[46:47]
	v_add_f64 v[22:23], v[22:23], v[44:45]
	v_add_f64 v[24:25], v[46:47], -v[24:25]
	v_add_f64 v[26:27], v[34:35], -v[28:29]
	v_add_f64 v[28:29], v[68:69], v[36:37]
	v_add_f64 v[34:35], v[60:61], v[56:57]
	;; [unrolled: 1-line block ×3, first 2 shown]
	v_add_f64 v[44:45], v[60:61], -v[56:57]
	v_add_f64 v[46:47], v[62:63], -v[58:59]
	v_add_f64 v[56:57], v[76:77], v[48:49]
	v_add_f64 v[58:59], v[78:79], v[50:51]
	v_add_f64 v[48:49], v[76:77], -v[48:49]
	v_add_f64 v[50:51], v[78:79], -v[50:51]
	v_add_f64 v[60:61], v[30:31], v[40:41]
	v_add_f64 v[62:63], v[32:33], v[42:43]
	;; [unrolled: 4-line block ×3, first 2 shown]
	v_add_f64 v[68:69], v[56:57], -v[34:35]
	v_add_f64 v[70:71], v[58:59], -v[36:37]
	;; [unrolled: 1-line block ×6, first 2 shown]
	v_add_f64 v[72:73], v[30:31], v[48:49]
	v_add_f64 v[74:75], v[32:33], v[50:51]
	v_add_f64 v[76:77], v[30:31], -v[48:49]
	v_add_f64 v[78:79], v[32:33], -v[50:51]
	v_add_f64 v[40:41], v[60:61], v[40:41]
	v_add_f64 v[42:43], v[62:63], v[42:43]
	v_add_f64 v[48:49], v[48:49], -v[44:45]
	v_add_f64 v[50:51], v[50:51], -v[46:47]
	;; [unrolled: 1-line block ×4, first 2 shown]
	v_add_f64 v[44:45], v[72:73], v[44:45]
	v_add_f64 v[46:47], v[74:75], v[46:47]
	;; [unrolled: 1-line block ×4, first 2 shown]
	v_mul_f64 v[34:35], v[34:35], s[2:3]
	v_mul_f64 v[36:37], v[36:37], s[2:3]
	;; [unrolled: 1-line block ×8, first 2 shown]
	v_fma_f64 v[40:41], v[40:41], s[14:15], v[6:7]
	v_fma_f64 v[42:43], v[42:43], s[14:15], v[8:9]
	;; [unrolled: 1-line block ×4, first 2 shown]
	v_fma_f64 v[60:61], v[68:69], s[16:17], -v[60:61]
	v_fma_f64 v[62:63], v[70:71], s[16:17], -v[62:63]
	v_fma_f64 v[34:35], v[68:69], s[18:19], -v[34:35]
	v_fma_f64 v[36:37], v[70:71], s[18:19], -v[36:37]
	v_fma_f64 v[68:69], v[30:31], s[20:21], v[72:73]
	v_fma_f64 v[70:71], v[32:33], s[20:21], v[74:75]
	v_fma_f64 v[30:31], v[30:31], s[24:25], -v[76:77]
	v_fma_f64 v[32:33], v[32:33], s[24:25], -v[78:79]
	;; [unrolled: 1-line block ×4, first 2 shown]
	v_add_f64 v[56:57], v[56:57], v[40:41]
	v_add_f64 v[58:59], v[58:59], v[42:43]
	;; [unrolled: 1-line block ×4, first 2 shown]
	v_fma_f64 v[70:71], v[46:47], s[22:23], v[70:71]
	v_fma_f64 v[68:69], v[44:45], s[22:23], v[68:69]
	;; [unrolled: 1-line block ×4, first 2 shown]
	v_add_f64 v[60:61], v[60:61], v[40:41]
	v_add_f64 v[62:63], v[62:63], v[42:43]
	v_fma_f64 v[50:51], v[46:47], s[22:23], v[50:51]
	v_fma_f64 v[80:81], v[44:45], s[22:23], v[48:49]
	v_add_f64 v[10:11], v[66:67], v[52:53]
	v_add_f64 v[12:13], v[54:55], -v[64:65]
	v_add_f64 v[30:31], v[52:53], -v[66:67]
	v_add_f64 v[32:33], v[64:65], v[54:55]
	v_add_f64 v[34:35], v[70:71], v[56:57]
	v_add_f64 v[36:37], v[58:59], -v[68:69]
	v_add_f64 v[40:41], v[76:77], v[72:73]
	v_add_f64 v[42:43], v[74:75], -v[78:79]
	v_add_f64 v[44:45], v[60:61], -v[50:51]
	v_add_f64 v[46:47], v[80:81], v[62:63]
	v_add_f64 v[48:49], v[50:51], v[60:61]
	v_add_f64 v[50:51], v[62:63], -v[80:81]
	v_add_f64 v[52:53], v[72:73], -v[76:77]
	v_add_f64 v[54:55], v[78:79], v[74:75]
	v_add_f64 v[56:57], v[56:57], -v[70:71]
	v_add_f64 v[58:59], v[68:69], v[58:59]
	s_barrier
	ds_write_b128 v38, v[2:5]
	ds_write_b128 v38, v[10:13] offset:624
	ds_write_b128 v38, v[14:17] offset:1248
	;; [unrolled: 1-line block ×13, first 2 shown]
	s_waitcnt lgkmcnt(0)
	s_barrier
	ds_read_b128 v[2:5], v38 offset:4368
	ds_read_b128 v[6:9], v38
	ds_read_b128 v[10:13], v38 offset:624
	ds_read_b128 v[14:17], v38 offset:4992
	;; [unrolled: 1-line block ×8, first 2 shown]
	s_waitcnt lgkmcnt(9)
	v_mul_f64 v[60:61], v[118:119], v[4:5]
	v_mul_f64 v[62:63], v[118:119], v[2:3]
	s_waitcnt lgkmcnt(6)
	v_mul_f64 v[64:65], v[122:123], v[16:17]
	v_mul_f64 v[66:67], v[122:123], v[14:15]
	ds_read_b128 v[44:47], v38 offset:2496
	ds_read_b128 v[48:51], v38 offset:3120
	;; [unrolled: 1-line block ×4, first 2 shown]
	s_waitcnt lgkmcnt(5)
	v_mul_f64 v[68:69], v[134:135], v[36:37]
	v_mul_f64 v[70:71], v[134:135], v[34:35]
	s_mov_b32 s2, 0x1e01e01e
	v_fma_f64 v[2:3], v[116:117], v[2:3], v[60:61]
	v_fma_f64 v[4:5], v[116:117], v[4:5], -v[62:63]
	v_mul_f64 v[60:61], v[126:127], v[20:21]
	v_mul_f64 v[62:63], v[126:127], v[18:19]
	v_fma_f64 v[14:15], v[120:121], v[14:15], v[64:65]
	v_fma_f64 v[16:17], v[120:121], v[16:17], -v[66:67]
	v_mul_f64 v[64:65], v[130:131], v[32:33]
	v_mul_f64 v[66:67], v[130:131], v[30:31]
	s_waitcnt lgkmcnt(1)
	v_mul_f64 v[72:73], v[142:143], v[54:55]
	v_mul_f64 v[74:75], v[142:143], v[52:53]
	v_fma_f64 v[18:19], v[124:125], v[18:19], v[60:61]
	v_fma_f64 v[20:21], v[124:125], v[20:21], -v[62:63]
	s_waitcnt lgkmcnt(0)
	v_mul_f64 v[60:61], v[138:139], v[58:59]
	v_mul_f64 v[62:63], v[138:139], v[56:57]
	v_fma_f64 v[30:31], v[128:129], v[30:31], v[64:65]
	v_fma_f64 v[32:33], v[128:129], v[32:33], -v[66:67]
	v_fma_f64 v[34:35], v[132:133], v[34:35], v[68:69]
	v_fma_f64 v[36:37], v[132:133], v[36:37], -v[70:71]
	;; [unrolled: 2-line block ×3, first 2 shown]
	v_add_f64 v[2:3], v[6:7], -v[2:3]
	v_add_f64 v[4:5], v[8:9], -v[4:5]
	v_fma_f64 v[56:57], v[136:137], v[56:57], v[60:61]
	v_fma_f64 v[58:59], v[136:137], v[58:59], -v[62:63]
	v_add_f64 v[14:15], v[10:11], -v[14:15]
	v_add_f64 v[16:17], v[12:13], -v[16:17]
	;; [unrolled: 1-line block ×6, first 2 shown]
	v_fma_f64 v[6:7], v[6:7], 2.0, -v[2:3]
	v_fma_f64 v[8:9], v[8:9], 2.0, -v[4:5]
	v_add_f64 v[34:35], v[44:45], -v[34:35]
	v_add_f64 v[36:37], v[46:47], -v[36:37]
	;; [unrolled: 1-line block ×6, first 2 shown]
	v_fma_f64 v[10:11], v[10:11], 2.0, -v[14:15]
	v_fma_f64 v[12:13], v[12:13], 2.0, -v[16:17]
	;; [unrolled: 1-line block ×12, first 2 shown]
	ds_write_b128 v38, v[6:9]
	ds_write_b128 v255, v[2:5] offset:4368
	ds_write_b128 v255, v[10:13] offset:624
	;; [unrolled: 1-line block ×13, first 2 shown]
	s_waitcnt lgkmcnt(0)
	s_barrier
	ds_read_b128 v[0:3], v38
	ds_read_b128 v[4:7], v38 offset:672
	buffer_load_dword v17, off, s[52:55], 0 offset:192 ; 4-byte Folded Reload
	buffer_load_dword v18, off, s[52:55], 0 offset:196 ; 4-byte Folded Reload
	;; [unrolled: 1-line block ×4, first 2 shown]
	v_mad_u64_u32 v[8:9], s[0:1], s10, v254, 0
	s_mov_b32 s3, 0x3f5e01e0
	s_waitcnt vmcnt(0) lgkmcnt(1)
	v_mul_f64 v[10:11], v[19:20], v[2:3]
	v_mul_f64 v[12:13], v[19:20], v[0:1]
	buffer_load_dword v19, off, s[52:55], 0 offset:160 ; 4-byte Folded Reload
	buffer_load_dword v20, off, s[52:55], 0 offset:164 ; 4-byte Folded Reload
	;; [unrolled: 1-line block ×4, first 2 shown]
	v_mad_u64_u32 v[14:15], s[0:1], s11, v254, v[9:10]
	v_mad_u64_u32 v[15:16], s[0:1], s8, v39, 0
	v_fma_f64 v[0:1], v[17:18], v[0:1], v[10:11]
	v_fma_f64 v[2:3], v[17:18], v[2:3], -v[12:13]
	v_mov_b32_e32 v10, v16
	v_mad_u64_u32 v[10:11], s[0:1], s9, v39, v[10:11]
	v_mov_b32_e32 v9, v14
	v_lshlrev_b64 v[8:9], 4, v[8:9]
	v_mov_b32_e32 v16, v10
	v_mul_f64 v[0:1], v[0:1], s[2:3]
	v_mul_f64 v[2:3], v[2:3], s[2:3]
	v_mov_b32_e32 v14, s7
	v_add_co_u32_e64 v17, s[0:1], s6, v8
	v_addc_co_u32_e64 v18, s[0:1], v14, v9, s[0:1]
	v_lshlrev_b64 v[8:9], 4, v[15:16]
	v_add_co_u32_e64 v14, s[0:1], v17, v8
	v_addc_co_u32_e64 v15, s[0:1], v18, v9, s[0:1]
	global_store_dwordx4 v[14:15], v[0:3], off
	s_mul_i32 s0, s9, 42
	s_mul_hi_u32 s1, s8, 42
	s_add_i32 s1, s1, s0
	s_mul_i32 s0, s8, 42
	s_lshl_b64 s[4:5], s[0:1], 4
	v_mov_b32_e32 v26, s5
	v_add_co_u32_e64 v14, s[0:1], s4, v14
	v_addc_co_u32_e64 v15, s[0:1], v15, v26, s[0:1]
	s_waitcnt vmcnt(1) lgkmcnt(0)
	v_mul_f64 v[10:11], v[21:22], v[6:7]
	v_mul_f64 v[12:13], v[21:22], v[4:5]
	v_fma_f64 v[10:11], v[19:20], v[4:5], v[10:11]
	v_fma_f64 v[12:13], v[19:20], v[6:7], -v[12:13]
	ds_read_b128 v[4:7], v38 offset:1344
	v_mul_f64 v[0:1], v[10:11], s[2:3]
	ds_read_b128 v[8:11], v38 offset:2016
	buffer_load_dword v18, off, s[52:55], 0 offset:176 ; 4-byte Folded Reload
	buffer_load_dword v19, off, s[52:55], 0 offset:180 ; 4-byte Folded Reload
	;; [unrolled: 1-line block ×4, first 2 shown]
	v_mul_f64 v[2:3], v[12:13], s[2:3]
	s_waitcnt vmcnt(0) lgkmcnt(1)
	v_mul_f64 v[12:13], v[20:21], v[6:7]
	v_mul_f64 v[16:17], v[20:21], v[4:5]
	buffer_load_dword v20, off, s[52:55], 0 offset:96 ; 4-byte Folded Reload
	buffer_load_dword v21, off, s[52:55], 0 offset:100 ; 4-byte Folded Reload
	buffer_load_dword v22, off, s[52:55], 0 offset:104 ; 4-byte Folded Reload
	buffer_load_dword v23, off, s[52:55], 0 offset:108 ; 4-byte Folded Reload
	v_fma_f64 v[4:5], v[18:19], v[4:5], v[12:13]
	v_fma_f64 v[12:13], v[18:19], v[6:7], -v[16:17]
	global_store_dwordx4 v[14:15], v[0:3], off
	v_add_co_u32_e64 v14, s[0:1], s4, v14
	v_addc_co_u32_e64 v15, s[0:1], v15, v26, s[0:1]
	v_mul_f64 v[0:1], v[4:5], s[2:3]
	ds_read_b128 v[4:7], v38 offset:2688
	v_mul_f64 v[2:3], v[12:13], s[2:3]
	s_waitcnt vmcnt(1) lgkmcnt(1)
	v_mul_f64 v[16:17], v[22:23], v[10:11]
	v_mul_f64 v[18:19], v[22:23], v[8:9]
	v_fma_f64 v[12:13], v[20:21], v[8:9], v[16:17]
	v_fma_f64 v[16:17], v[20:21], v[10:11], -v[18:19]
	ds_read_b128 v[8:11], v38 offset:3360
	buffer_load_dword v22, off, s[52:55], 0 offset:144 ; 4-byte Folded Reload
	buffer_load_dword v23, off, s[52:55], 0 offset:148 ; 4-byte Folded Reload
	;; [unrolled: 1-line block ×4, first 2 shown]
	s_waitcnt vmcnt(0) lgkmcnt(1)
	v_mul_f64 v[18:19], v[24:25], v[6:7]
	v_mul_f64 v[20:21], v[24:25], v[4:5]
	global_store_dwordx4 v[14:15], v[0:3], off
	v_add_co_u32_e64 v14, s[0:1], s4, v14
	v_mul_f64 v[0:1], v[12:13], s[2:3]
	v_mul_f64 v[2:3], v[16:17], s[2:3]
	v_addc_co_u32_e64 v15, s[0:1], v15, v26, s[0:1]
	v_fma_f64 v[4:5], v[22:23], v[4:5], v[18:19]
	v_fma_f64 v[12:13], v[22:23], v[6:7], -v[20:21]
	buffer_load_dword v20, off, s[52:55], 0 offset:48 ; 4-byte Folded Reload
	buffer_load_dword v21, off, s[52:55], 0 offset:52 ; 4-byte Folded Reload
	;; [unrolled: 1-line block ×4, first 2 shown]
	s_waitcnt vmcnt(0) lgkmcnt(0)
	v_mul_f64 v[16:17], v[22:23], v[10:11]
	v_mul_f64 v[18:19], v[22:23], v[8:9]
	global_store_dwordx4 v[14:15], v[0:3], off
	v_add_co_u32_e64 v14, s[0:1], s4, v14
	v_mul_f64 v[0:1], v[4:5], s[2:3]
	ds_read_b128 v[4:7], v38 offset:4032
	v_mul_f64 v[2:3], v[12:13], s[2:3]
	v_fma_f64 v[12:13], v[20:21], v[8:9], v[16:17]
	v_fma_f64 v[16:17], v[20:21], v[10:11], -v[18:19]
	ds_read_b128 v[8:11], v38 offset:4704
	buffer_load_dword v22, off, s[52:55], 0 offset:16 ; 4-byte Folded Reload
	buffer_load_dword v23, off, s[52:55], 0 offset:20 ; 4-byte Folded Reload
	;; [unrolled: 1-line block ×4, first 2 shown]
	v_addc_co_u32_e64 v15, s[0:1], v15, v26, s[0:1]
	global_store_dwordx4 v[14:15], v[0:3], off
	s_nop 0
	v_mul_f64 v[0:1], v[12:13], s[2:3]
	v_mul_f64 v[2:3], v[16:17], s[2:3]
	v_add_co_u32_e64 v14, s[0:1], s4, v14
	v_addc_co_u32_e64 v15, s[0:1], v15, v26, s[0:1]
	s_waitcnt vmcnt(1) lgkmcnt(1)
	v_mul_f64 v[18:19], v[24:25], v[6:7]
	v_mul_f64 v[20:21], v[24:25], v[4:5]
	v_fma_f64 v[4:5], v[22:23], v[4:5], v[18:19]
	v_fma_f64 v[12:13], v[22:23], v[6:7], -v[20:21]
	buffer_load_dword v20, off, s[52:55], 0 offset:128 ; 4-byte Folded Reload
	buffer_load_dword v21, off, s[52:55], 0 offset:132 ; 4-byte Folded Reload
	;; [unrolled: 1-line block ×4, first 2 shown]
	s_waitcnt vmcnt(0) lgkmcnt(0)
	v_mul_f64 v[16:17], v[22:23], v[10:11]
	v_mul_f64 v[18:19], v[22:23], v[8:9]
	global_store_dwordx4 v[14:15], v[0:3], off
	v_add_co_u32_e64 v14, s[0:1], s4, v14
	v_mul_f64 v[0:1], v[4:5], s[2:3]
	ds_read_b128 v[4:7], v38 offset:5376
	v_mul_f64 v[2:3], v[12:13], s[2:3]
	v_fma_f64 v[12:13], v[20:21], v[8:9], v[16:17]
	v_fma_f64 v[16:17], v[20:21], v[10:11], -v[18:19]
	ds_read_b128 v[8:11], v38 offset:6048
	buffer_load_dword v22, off, s[52:55], 0 offset:32 ; 4-byte Folded Reload
	buffer_load_dword v23, off, s[52:55], 0 offset:36 ; 4-byte Folded Reload
	;; [unrolled: 1-line block ×4, first 2 shown]
	v_addc_co_u32_e64 v15, s[0:1], v15, v26, s[0:1]
	global_store_dwordx4 v[14:15], v[0:3], off
	s_nop 0
	v_mul_f64 v[0:1], v[12:13], s[2:3]
	v_mul_f64 v[2:3], v[16:17], s[2:3]
	v_add_co_u32_e64 v14, s[0:1], s4, v14
	v_addc_co_u32_e64 v15, s[0:1], v15, v26, s[0:1]
	s_waitcnt vmcnt(1) lgkmcnt(1)
	v_mul_f64 v[18:19], v[24:25], v[6:7]
	v_mul_f64 v[20:21], v[24:25], v[4:5]
	v_fma_f64 v[4:5], v[22:23], v[4:5], v[18:19]
	v_fma_f64 v[12:13], v[22:23], v[6:7], -v[20:21]
	buffer_load_dword v20, off, s[52:55], 0 offset:112 ; 4-byte Folded Reload
	buffer_load_dword v21, off, s[52:55], 0 offset:116 ; 4-byte Folded Reload
	buffer_load_dword v22, off, s[52:55], 0 offset:120 ; 4-byte Folded Reload
	buffer_load_dword v23, off, s[52:55], 0 offset:124 ; 4-byte Folded Reload
	s_waitcnt vmcnt(0) lgkmcnt(0)
	v_mul_f64 v[16:17], v[22:23], v[10:11]
	v_mul_f64 v[18:19], v[22:23], v[8:9]
	global_store_dwordx4 v[14:15], v[0:3], off
	v_add_co_u32_e64 v22, s[0:1], s4, v14
	v_mul_f64 v[0:1], v[4:5], s[2:3]
	ds_read_b128 v[4:7], v38 offset:6720
	v_mul_f64 v[2:3], v[12:13], s[2:3]
	v_fma_f64 v[12:13], v[20:21], v[8:9], v[16:17]
	v_fma_f64 v[16:17], v[20:21], v[10:11], -v[18:19]
	ds_read_b128 v[8:11], v38 offset:7392
	buffer_load_dword v27, off, s[52:55], 0 ; 4-byte Folded Reload
	buffer_load_dword v28, off, s[52:55], 0 offset:4 ; 4-byte Folded Reload
	buffer_load_dword v29, off, s[52:55], 0 offset:8 ; 4-byte Folded Reload
	;; [unrolled: 1-line block ×3, first 2 shown]
	v_addc_co_u32_e64 v23, s[0:1], v15, v26, s[0:1]
	global_store_dwordx4 v[22:23], v[0:3], off
	s_nop 0
	v_mul_f64 v[0:1], v[12:13], s[2:3]
	ds_read_b128 v[12:15], v38 offset:8064
	v_mul_f64 v[2:3], v[16:17], s[2:3]
	v_add_co_u32_e64 v22, s[0:1], s4, v22
	v_addc_co_u32_e64 v23, s[0:1], v23, v26, s[0:1]
	s_waitcnt vmcnt(1) lgkmcnt(2)
	v_mul_f64 v[18:19], v[29:30], v[6:7]
	v_mul_f64 v[20:21], v[29:30], v[4:5]
	v_fma_f64 v[4:5], v[27:28], v[4:5], v[18:19]
	v_fma_f64 v[6:7], v[27:28], v[6:7], -v[20:21]
	buffer_load_dword v27, off, s[52:55], 0 offset:64 ; 4-byte Folded Reload
	buffer_load_dword v28, off, s[52:55], 0 offset:68 ; 4-byte Folded Reload
	;; [unrolled: 1-line block ×4, first 2 shown]
	s_waitcnt vmcnt(0) lgkmcnt(1)
	v_mul_f64 v[16:17], v[29:30], v[10:11]
	v_mul_f64 v[18:19], v[29:30], v[8:9]
	buffer_load_dword v29, off, s[52:55], 0 offset:80 ; 4-byte Folded Reload
	buffer_load_dword v30, off, s[52:55], 0 offset:84 ; 4-byte Folded Reload
	;; [unrolled: 1-line block ×4, first 2 shown]
	s_waitcnt vmcnt(0) lgkmcnt(0)
	v_mul_f64 v[20:21], v[31:32], v[14:15]
	v_mul_f64 v[24:25], v[31:32], v[12:13]
	global_store_dwordx4 v[22:23], v[0:3], off
	s_nop 0
	v_mul_f64 v[0:1], v[4:5], s[2:3]
	v_mul_f64 v[2:3], v[6:7], s[2:3]
	v_fma_f64 v[4:5], v[27:28], v[8:9], v[16:17]
	v_fma_f64 v[6:7], v[27:28], v[10:11], -v[18:19]
	v_fma_f64 v[8:9], v[29:30], v[12:13], v[20:21]
	v_fma_f64 v[10:11], v[29:30], v[14:15], -v[24:25]
	v_add_co_u32_e64 v12, s[0:1], s4, v22
	v_addc_co_u32_e64 v13, s[0:1], v23, v26, s[0:1]
	v_mul_f64 v[4:5], v[4:5], s[2:3]
	v_mul_f64 v[6:7], v[6:7], s[2:3]
	;; [unrolled: 1-line block ×4, first 2 shown]
	global_store_dwordx4 v[12:13], v[0:3], off
	s_nop 0
	v_add_co_u32_e64 v0, s[0:1], s4, v12
	v_addc_co_u32_e64 v1, s[0:1], v13, v26, s[0:1]
	global_store_dwordx4 v[0:1], v[4:7], off
	v_add_co_u32_e64 v0, s[0:1], s4, v0
	v_addc_co_u32_e64 v1, s[0:1], v1, v26, s[0:1]
	global_store_dwordx4 v[0:1], v[8:11], off
	s_and_b64 exec, exec, vcc
	s_cbranch_execz .LBB0_23
; %bb.22:
	global_load_dwordx4 v[2:5], v[252:253], off offset:624
	ds_read_b128 v[6:9], v255 offset:624
	v_mov_b32_e32 v18, s5
	s_waitcnt vmcnt(0) lgkmcnt(0)
	v_mul_f64 v[10:11], v[8:9], v[4:5]
	v_mul_f64 v[4:5], v[6:7], v[4:5]
	v_fma_f64 v[6:7], v[6:7], v[2:3], v[10:11]
	v_fma_f64 v[4:5], v[2:3], v[8:9], -v[4:5]
	v_mul_f64 v[2:3], v[6:7], s[2:3]
	v_mul_f64 v[4:5], v[4:5], s[2:3]
	v_mov_b32_e32 v6, 0xffffe2f0
	v_mad_u64_u32 v[12:13], s[0:1], s8, v6, v[0:1]
	s_mul_i32 s0, s9, 0xffffe2f0
	s_sub_i32 s0, s0, s8
	v_add_u32_e32 v13, s0, v13
	s_movk_i32 s0, 0x1000
	global_store_dwordx4 v[12:13], v[2:5], off
	global_load_dwordx4 v[0:3], v[252:253], off offset:1296
	ds_read_b128 v[4:7], v38 offset:1296
	ds_read_b128 v[8:11], v38 offset:1968
	s_waitcnt vmcnt(0) lgkmcnt(1)
	v_mul_f64 v[14:15], v[6:7], v[2:3]
	v_mul_f64 v[2:3], v[4:5], v[2:3]
	v_fma_f64 v[4:5], v[4:5], v[0:1], v[14:15]
	v_fma_f64 v[2:3], v[0:1], v[6:7], -v[2:3]
	v_mul_f64 v[0:1], v[4:5], s[2:3]
	v_mul_f64 v[2:3], v[2:3], s[2:3]
	v_add_co_u32_e32 v4, vcc, s4, v12
	v_addc_co_u32_e32 v5, vcc, v13, v18, vcc
	v_add_co_u32_e32 v12, vcc, s4, v4
	v_addc_co_u32_e32 v13, vcc, v5, v18, vcc
	global_store_dwordx4 v[4:5], v[0:3], off
	global_load_dwordx4 v[0:3], v[252:253], off offset:1968
	s_waitcnt vmcnt(0) lgkmcnt(0)
	v_mul_f64 v[6:7], v[10:11], v[2:3]
	v_mul_f64 v[2:3], v[8:9], v[2:3]
	v_fma_f64 v[6:7], v[8:9], v[0:1], v[6:7]
	v_fma_f64 v[2:3], v[0:1], v[10:11], -v[2:3]
	v_mul_f64 v[0:1], v[6:7], s[2:3]
	v_mul_f64 v[2:3], v[2:3], s[2:3]
	global_store_dwordx4 v[12:13], v[0:3], off
	global_load_dwordx4 v[0:3], v[252:253], off offset:2640
	ds_read_b128 v[4:7], v38 offset:2640
	ds_read_b128 v[8:11], v38 offset:3312
	s_waitcnt vmcnt(0) lgkmcnt(1)
	v_mul_f64 v[14:15], v[6:7], v[2:3]
	v_mul_f64 v[2:3], v[4:5], v[2:3]
	v_fma_f64 v[4:5], v[4:5], v[0:1], v[14:15]
	v_fma_f64 v[2:3], v[0:1], v[6:7], -v[2:3]
	v_mul_f64 v[0:1], v[4:5], s[2:3]
	v_mul_f64 v[2:3], v[2:3], s[2:3]
	v_add_co_u32_e32 v4, vcc, s4, v12
	v_addc_co_u32_e32 v5, vcc, v13, v18, vcc
	v_add_co_u32_e32 v12, vcc, s4, v4
	v_addc_co_u32_e32 v13, vcc, v5, v18, vcc
	global_store_dwordx4 v[4:5], v[0:3], off
	global_load_dwordx4 v[0:3], v[252:253], off offset:3312
	s_waitcnt vmcnt(0) lgkmcnt(0)
	v_mul_f64 v[6:7], v[10:11], v[2:3]
	v_mul_f64 v[2:3], v[8:9], v[2:3]
	v_fma_f64 v[6:7], v[8:9], v[0:1], v[6:7]
	v_fma_f64 v[2:3], v[0:1], v[10:11], -v[2:3]
	v_mul_f64 v[0:1], v[6:7], s[2:3]
	v_mul_f64 v[2:3], v[2:3], s[2:3]
	global_store_dwordx4 v[12:13], v[0:3], off
	global_load_dwordx4 v[0:3], v[252:253], off offset:3984
	ds_read_b128 v[4:7], v38 offset:3984
	ds_read_b128 v[8:11], v38 offset:4656
	s_waitcnt vmcnt(0) lgkmcnt(1)
	v_mul_f64 v[14:15], v[6:7], v[2:3]
	v_mul_f64 v[2:3], v[4:5], v[2:3]
	v_fma_f64 v[4:5], v[4:5], v[0:1], v[14:15]
	v_fma_f64 v[2:3], v[0:1], v[6:7], -v[2:3]
	v_add_co_u32_e32 v14, vcc, s0, v252
	v_addc_co_u32_e32 v15, vcc, 0, v253, vcc
	s_movk_i32 s0, 0x2000
	v_mul_f64 v[0:1], v[4:5], s[2:3]
	v_mul_f64 v[2:3], v[2:3], s[2:3]
	v_add_co_u32_e32 v4, vcc, s4, v12
	v_addc_co_u32_e32 v5, vcc, v13, v18, vcc
	v_add_co_u32_e32 v12, vcc, s4, v4
	v_addc_co_u32_e32 v13, vcc, v5, v18, vcc
	global_store_dwordx4 v[4:5], v[0:3], off
	global_load_dwordx4 v[0:3], v[14:15], off offset:560
	s_waitcnt vmcnt(0) lgkmcnt(0)
	v_mul_f64 v[6:7], v[10:11], v[2:3]
	v_mul_f64 v[2:3], v[8:9], v[2:3]
	v_fma_f64 v[6:7], v[8:9], v[0:1], v[6:7]
	v_fma_f64 v[2:3], v[0:1], v[10:11], -v[2:3]
	v_mul_f64 v[0:1], v[6:7], s[2:3]
	v_mul_f64 v[2:3], v[2:3], s[2:3]
	global_store_dwordx4 v[12:13], v[0:3], off
	global_load_dwordx4 v[0:3], v[14:15], off offset:1232
	ds_read_b128 v[4:7], v38 offset:5328
	ds_read_b128 v[8:11], v38 offset:6000
	s_waitcnt vmcnt(0) lgkmcnt(1)
	v_mul_f64 v[16:17], v[6:7], v[2:3]
	v_mul_f64 v[2:3], v[4:5], v[2:3]
	v_fma_f64 v[4:5], v[4:5], v[0:1], v[16:17]
	v_fma_f64 v[2:3], v[0:1], v[6:7], -v[2:3]
	v_mul_f64 v[0:1], v[4:5], s[2:3]
	v_mul_f64 v[2:3], v[2:3], s[2:3]
	v_add_co_u32_e32 v4, vcc, s4, v12
	v_addc_co_u32_e32 v5, vcc, v13, v18, vcc
	v_add_co_u32_e32 v12, vcc, s4, v4
	v_addc_co_u32_e32 v13, vcc, v5, v18, vcc
	global_store_dwordx4 v[4:5], v[0:3], off
	global_load_dwordx4 v[0:3], v[14:15], off offset:1904
	s_waitcnt vmcnt(0) lgkmcnt(0)
	v_mul_f64 v[6:7], v[10:11], v[2:3]
	v_mul_f64 v[2:3], v[8:9], v[2:3]
	v_fma_f64 v[6:7], v[8:9], v[0:1], v[6:7]
	v_fma_f64 v[2:3], v[0:1], v[10:11], -v[2:3]
	v_mul_f64 v[0:1], v[6:7], s[2:3]
	v_mul_f64 v[2:3], v[2:3], s[2:3]
	global_store_dwordx4 v[12:13], v[0:3], off
	global_load_dwordx4 v[0:3], v[14:15], off offset:2576
	ds_read_b128 v[4:7], v38 offset:6672
	ds_read_b128 v[8:11], v38 offset:7344
	s_waitcnt vmcnt(0) lgkmcnt(1)
	v_mul_f64 v[16:17], v[6:7], v[2:3]
	v_mul_f64 v[2:3], v[4:5], v[2:3]
	v_fma_f64 v[4:5], v[4:5], v[0:1], v[16:17]
	v_fma_f64 v[2:3], v[0:1], v[6:7], -v[2:3]
	;; [unrolled: 24-line block ×3, first 2 shown]
	v_mul_f64 v[0:1], v[4:5], s[2:3]
	v_mul_f64 v[2:3], v[2:3], s[2:3]
	v_add_co_u32_e32 v4, vcc, s0, v252
	v_addc_co_u32_e32 v5, vcc, 0, v253, vcc
	v_add_co_u32_e32 v6, vcc, s4, v12
	v_addc_co_u32_e32 v7, vcc, v13, v18, vcc
	global_store_dwordx4 v[6:7], v[0:3], off
	global_load_dwordx4 v[0:3], v[4:5], off offset:496
	s_waitcnt vmcnt(0) lgkmcnt(0)
	v_mul_f64 v[4:5], v[10:11], v[2:3]
	v_mul_f64 v[2:3], v[8:9], v[2:3]
	v_fma_f64 v[4:5], v[8:9], v[0:1], v[4:5]
	v_fma_f64 v[2:3], v[0:1], v[10:11], -v[2:3]
	v_mul_f64 v[0:1], v[4:5], s[2:3]
	v_mul_f64 v[2:3], v[2:3], s[2:3]
	v_add_co_u32_e32 v4, vcc, s4, v6
	v_addc_co_u32_e32 v5, vcc, v7, v18, vcc
	global_store_dwordx4 v[4:5], v[0:3], off
.LBB0_23:
	s_endpgm
	.section	.rodata,"a",@progbits
	.p2align	6, 0x0
	.amdhsa_kernel bluestein_single_back_len546_dim1_dp_op_CI_CI
		.amdhsa_group_segment_fixed_size 26208
		.amdhsa_private_segment_fixed_size 308
		.amdhsa_kernarg_size 104
		.amdhsa_user_sgpr_count 6
		.amdhsa_user_sgpr_private_segment_buffer 1
		.amdhsa_user_sgpr_dispatch_ptr 0
		.amdhsa_user_sgpr_queue_ptr 0
		.amdhsa_user_sgpr_kernarg_segment_ptr 1
		.amdhsa_user_sgpr_dispatch_id 0
		.amdhsa_user_sgpr_flat_scratch_init 0
		.amdhsa_user_sgpr_private_segment_size 0
		.amdhsa_uses_dynamic_stack 0
		.amdhsa_system_sgpr_private_segment_wavefront_offset 1
		.amdhsa_system_sgpr_workgroup_id_x 1
		.amdhsa_system_sgpr_workgroup_id_y 0
		.amdhsa_system_sgpr_workgroup_id_z 0
		.amdhsa_system_sgpr_workgroup_info 0
		.amdhsa_system_vgpr_workitem_id 0
		.amdhsa_next_free_vgpr 256
		.amdhsa_next_free_sgpr 56
		.amdhsa_reserve_vcc 1
		.amdhsa_reserve_flat_scratch 0
		.amdhsa_float_round_mode_32 0
		.amdhsa_float_round_mode_16_64 0
		.amdhsa_float_denorm_mode_32 3
		.amdhsa_float_denorm_mode_16_64 3
		.amdhsa_dx10_clamp 1
		.amdhsa_ieee_mode 1
		.amdhsa_fp16_overflow 0
		.amdhsa_exception_fp_ieee_invalid_op 0
		.amdhsa_exception_fp_denorm_src 0
		.amdhsa_exception_fp_ieee_div_zero 0
		.amdhsa_exception_fp_ieee_overflow 0
		.amdhsa_exception_fp_ieee_underflow 0
		.amdhsa_exception_fp_ieee_inexact 0
		.amdhsa_exception_int_div_zero 0
	.end_amdhsa_kernel
	.text
.Lfunc_end0:
	.size	bluestein_single_back_len546_dim1_dp_op_CI_CI, .Lfunc_end0-bluestein_single_back_len546_dim1_dp_op_CI_CI
                                        ; -- End function
	.section	.AMDGPU.csdata,"",@progbits
; Kernel info:
; codeLenInByte = 30964
; NumSgprs: 60
; NumVgprs: 256
; ScratchSize: 308
; MemoryBound: 0
; FloatMode: 240
; IeeeMode: 1
; LDSByteSize: 26208 bytes/workgroup (compile time only)
; SGPRBlocks: 7
; VGPRBlocks: 63
; NumSGPRsForWavesPerEU: 60
; NumVGPRsForWavesPerEU: 256
; Occupancy: 1
; WaveLimiterHint : 1
; COMPUTE_PGM_RSRC2:SCRATCH_EN: 1
; COMPUTE_PGM_RSRC2:USER_SGPR: 6
; COMPUTE_PGM_RSRC2:TRAP_HANDLER: 0
; COMPUTE_PGM_RSRC2:TGID_X_EN: 1
; COMPUTE_PGM_RSRC2:TGID_Y_EN: 0
; COMPUTE_PGM_RSRC2:TGID_Z_EN: 0
; COMPUTE_PGM_RSRC2:TIDIG_COMP_CNT: 0
	.type	__hip_cuid_30a4bf4e686e4ad6,@object ; @__hip_cuid_30a4bf4e686e4ad6
	.section	.bss,"aw",@nobits
	.globl	__hip_cuid_30a4bf4e686e4ad6
__hip_cuid_30a4bf4e686e4ad6:
	.byte	0                               ; 0x0
	.size	__hip_cuid_30a4bf4e686e4ad6, 1

	.ident	"AMD clang version 19.0.0git (https://github.com/RadeonOpenCompute/llvm-project roc-6.4.0 25133 c7fe45cf4b819c5991fe208aaa96edf142730f1d)"
	.section	".note.GNU-stack","",@progbits
	.addrsig
	.addrsig_sym __hip_cuid_30a4bf4e686e4ad6
	.amdgpu_metadata
---
amdhsa.kernels:
  - .args:
      - .actual_access:  read_only
        .address_space:  global
        .offset:         0
        .size:           8
        .value_kind:     global_buffer
      - .actual_access:  read_only
        .address_space:  global
        .offset:         8
        .size:           8
        .value_kind:     global_buffer
      - .actual_access:  read_only
        .address_space:  global
        .offset:         16
        .size:           8
        .value_kind:     global_buffer
      - .actual_access:  read_only
        .address_space:  global
        .offset:         24
        .size:           8
        .value_kind:     global_buffer
      - .actual_access:  read_only
        .address_space:  global
        .offset:         32
        .size:           8
        .value_kind:     global_buffer
      - .offset:         40
        .size:           8
        .value_kind:     by_value
      - .address_space:  global
        .offset:         48
        .size:           8
        .value_kind:     global_buffer
      - .address_space:  global
        .offset:         56
        .size:           8
        .value_kind:     global_buffer
      - .address_space:  global
        .offset:         64
        .size:           8
        .value_kind:     global_buffer
      - .address_space:  global
        .offset:         72
        .size:           8
        .value_kind:     global_buffer
      - .offset:         80
        .size:           4
        .value_kind:     by_value
      - .address_space:  global
        .offset:         88
        .size:           8
        .value_kind:     global_buffer
      - .address_space:  global
        .offset:         96
        .size:           8
        .value_kind:     global_buffer
    .group_segment_fixed_size: 26208
    .kernarg_segment_align: 8
    .kernarg_segment_size: 104
    .language:       OpenCL C
    .language_version:
      - 2
      - 0
    .max_flat_workgroup_size: 117
    .name:           bluestein_single_back_len546_dim1_dp_op_CI_CI
    .private_segment_fixed_size: 308
    .sgpr_count:     60
    .sgpr_spill_count: 0
    .symbol:         bluestein_single_back_len546_dim1_dp_op_CI_CI.kd
    .uniform_work_group_size: 1
    .uses_dynamic_stack: false
    .vgpr_count:     256
    .vgpr_spill_count: 76
    .wavefront_size: 64
amdhsa.target:   amdgcn-amd-amdhsa--gfx906
amdhsa.version:
  - 1
  - 2
...

	.end_amdgpu_metadata
